;; amdgpu-corpus repo=ROCm/aiter kind=harvested arch=n/a opt=n/a

/root/src/amdgpu-assembly/repos/ROCm__aiter/hsa/gfx942/fmoe_int8_g1u0_smf.co:	file format elf64-amdgpu

Disassembly of section .text:

0000000000002b00 <fmoe_kernel_func>:
	s_and_b32 s1, s1, 0xffff                                   // 000000002B00: 8601FF01 0000FFFF
	s_load_dwordx2 s[8:9], s[0:1], 0x0                         // 000000002B08: C0060200 00000000
	s_load_dwordx2 s[20:21], s[0:1], 0x10                      // 000000002B10: C0060500 00000010
	s_load_dwordx2 s[24:25], s[0:1], 0x20                      // 000000002B18: C0060600 00000020
	s_load_dwordx2 s[50:51], s[0:1], 0x30                      // 000000002B20: C0060C80 00000030
	s_load_dwordx2 s[12:13], s[0:1], 0x40                      // 000000002B28: C0060300 00000040
	s_load_dwordx2 s[28:29], s[0:1], 0x50                      // 000000002B30: C0060700 00000050
	s_load_dwordx2 s[32:33], s[0:1], 0x60                      // 000000002B38: C0060800 00000060
	s_load_dwordx2 s[16:17], s[0:1], 0x70                      // 000000002B40: C0060400 00000070
	s_load_dwordx2 s[36:37], s[0:1], 0x80                      // 000000002B48: C0060900 00000080
	s_load_dwordx2 s[44:45], s[0:1], 0x90                      // 000000002B50: C0060B00 00000090
	s_load_dwordx2 s[40:41], s[0:1], 0xa0                      // 000000002B58: C0060A00 000000A0
	s_load_dwordx2 s[46:47], s[0:1], 0xb0                      // 000000002B60: C0060B80 000000B0
	s_load_dword s64, s[0:1], 0xc0                             // 000000002B68: C0021000 000000C0
	s_load_dword s65, s[0:1], 0xd0                             // 000000002B70: C0021040 000000D0
	s_load_dword s66, s[0:1], 0xe0                             // 000000002B78: C0021080 000000E0
	s_load_dword s67, s[0:1], 0xf0                             // 000000002B80: C00210C0 000000F0
	s_load_dword s68, s[0:1], 0x100                            // 000000002B88: C0021100 00000100
	s_load_dword s69, s[0:1], 0x110                            // 000000002B90: C0021140 00000110
	s_load_dword s70, s[0:1], 0x120                            // 000000002B98: C0021180 00000120
	s_load_dword s71, s[0:1], 0x130                            // 000000002BA0: C00211C0 00000130
	s_load_dword s72, s[0:1], 0x140                            // 000000002BA8: C0021200 00000140
	s_load_dword s73, s[0:1], 0x150                            // 000000002BB0: C0021240 00000150
	s_load_dword s74, s[0:1], 0x160                            // 000000002BB8: C0021280 00000160
	s_load_dword s75, s[0:1], 0x170                            // 000000002BC0: C00212C0 00000170
	s_load_dword s76, s[0:1], 0x180                            // 000000002BC8: C0021300 00000180
	s_load_dword s63, s[0:1], 0x190                            // 000000002BD0: C0020FC0 00000190
	v_lshrrev_b32_e32 v1, 10, v0                               // 000000002BD8: 2002008A
	v_lshrrev_b32_e32 v2, 10, v1                               // 000000002BDC: 2004028A
	v_and_b32_e32 v2, 0x3ff, v2                                // 000000002BE0: 260404FF 000003FF
	v_and_b32_e32 v1, 0x3ff, v1                                // 000000002BE8: 260202FF 000003FF
	v_and_b32_e32 v0, 0x3ff, v0                                // 000000002BF0: 260000FF 000003FF
	v_lshrrev_b32_e32 v3, 6, v0                                // 000000002BF8: 20060086
	v_and_b32_e32 v0, 63, v0                                   // 000000002BFC: 260000BF
	s_mov_b32 s60, s2                                          // 000000002C00: BEBC0002
	s_mov_b32 s2, s3                                           // 000000002C04: BE820003
	s_mov_b32 s3, s60                                          // 000000002C08: BE83003C
	v_readfirstlane_b32 s5, v3                                 // 000000002C0C: 7E0A0503
	s_waitcnt lgkmcnt(0)                                       // 000000002C10: BF8CC07F
	s_and_b32 s51, s51, 0xffff                                 // 000000002C14: 8633FF33 0000FFFF
	s_load_dword s50, s[50:51], 0x0                            // 000000002C1C: C0020C99 00000000
	s_and_b32 s45, s45, 0xffff                                 // 000000002C24: 862DFF2D 0000FFFF
	s_and_b32 s47, s47, 0xffff                                 // 000000002C2C: 862FFF2F 0000FFFF
	s_and_b32 s9, s9, 0xffff                                   // 000000002C34: 8609FF09 0000FFFF
	s_mul_i32 s60, s66, s68                                    // 000000002C3C: 923C4442
	s_mov_b32 s22, s60                                         // 000000002C40: BE96003C
	s_mov_b32 s26, 0x80000000                                  // 000000002C44: BE9A00FF 80000000
	s_mov_b32 s14, 0x80000000                                  // 000000002C4C: BE8E00FF 80000000
	s_mov_b32 s42, 0x80000000                                  // 000000002C54: BEAA00FF 80000000
	s_mov_b32 s30, 0x80000000                                  // 000000002C5C: BE9E00FF 80000000
	s_mov_b32 s34, 0x80000000                                  // 000000002C64: BEA200FF 80000000
	s_mov_b32 s38, 0x80000000                                  // 000000002C6C: BEA600FF 80000000
	s_mov_b32 s18, 0x80000000                                  // 000000002C74: BE9200FF 80000000
	s_mov_b32 s23, 0x20000                                     // 000000002C7C: BE9700FF 00020000
	s_mov_b32 s27, 0x20000                                     // 000000002C84: BE9B00FF 00020000
	s_mov_b32 s15, 0x20000                                     // 000000002C8C: BE8F00FF 00020000
	s_mov_b32 s43, 0x20000                                     // 000000002C94: BEAB00FF 00020000
	s_mov_b32 s31, 0x20000                                     // 000000002C9C: BE9F00FF 00020000
	s_mov_b32 s35, 0x20000                                     // 000000002CA4: BEA300FF 00020000
	s_mov_b32 s39, 0x20000                                     // 000000002CAC: BEA700FF 00020000
	s_mov_b32 s19, 0x20000                                     // 000000002CB4: BE9300FF 00020000
	s_and_b32 s21, s21, 0xffff                                 // 000000002CBC: 8615FF15 0000FFFF
	s_and_b32 s25, s25, 0xffff                                 // 000000002CC4: 8619FF19 0000FFFF
	s_and_b32 s13, s13, 0xffff                                 // 000000002CCC: 860DFF0D 0000FFFF
	s_and_b32 s41, s41, 0xffff                                 // 000000002CD4: 8629FF29 0000FFFF
	s_and_b32 s29, s29, 0xffff                                 // 000000002CDC: 861DFF1D 0000FFFF
	s_and_b32 s33, s33, 0xffff                                 // 000000002CE4: 8621FF21 0000FFFF
	s_and_b32 s37, s37, 0xffff                                 // 000000002CEC: 8625FF25 0000FFFF
	s_and_b32 s17, s17, 0xffff                                 // 000000002CF4: 8611FF11 0000FFFF
	s_or_b32 s21, s21, 0x40000                                 // 000000002CFC: 8715FF15 00040000
	s_or_b32 s25, s25, 0x40000                                 // 000000002D04: 8719FF19 00040000
	s_or_b32 s13, s13, 0x40000                                 // 000000002D0C: 870DFF0D 00040000
	s_or_b32 s41, s41, 0x40000                                 // 000000002D14: 8729FF29 00040000
	s_or_b32 s29, s29, 0x40000                                 // 000000002D1C: 871DFF1D 00040000
	s_or_b32 s33, s33, 0x40000                                 // 000000002D24: 8721FF21 00040000
	s_or_b32 s37, s37, 0x40000                                 // 000000002D2C: 8725FF25 00040000
	s_or_b32 s17, s17, 0x40000                                 // 000000002D34: 8711FF11 00040000
	v_accvgpr_write_b32 a255, 0                                // 000000002D3C: D3D940FF 18000080
	v_mov_b32_e32 v255, 0                                      // 000000002D44: 7FFE0280
	s_waitcnt lgkmcnt(0)                                       // 000000002D48: BF8CC07F
	s_mul_i32 s60, s3, 32                                      // 000000002D4C: 923CA003
	s_cmp_lt_i32 s60, s50                                      // 000000002D50: BF04323C
	s_cbranch_scc0 label_2CD5                                  // 000000002D54: BF842C3F
	s_mov_b32 s80, 0                                           // 000000002D58: BED00080
	s_mov_b32 s81, s64                                         // 000000002D5C: BED10040
	s_mul_i32 s60, s3, 4                                       // 000000002D60: 923C8403
	s_add_u32 s46, s60, s46                                    // 000000002D64: 802E2E3C
	s_addc_u32 s47, 0, s47                                     // 000000002D68: 822F2F80
	s_load_dword s77, s[46:47], 0x0                            // 000000002D6C: C0021357 00000000
	s_mul_i32 s60, s3, 32                                      // 000000002D74: 923CA003
	s_add_u32 s60, s5, s60                                     // 000000002D78: 803C3C05
	s_mul_i32 s60, 4, s60                                      // 000000002D7C: 923C3C84
	s_add_u32 s44, s60, s44                                    // 000000002D80: 802C2C3C
	s_addc_u32 s45, 0, s45                                     // 000000002D84: 822D2D80
	s_load_dword s86, s[44:45], 0x0                            // 000000002D88: C0021596 00000000
	s_load_dword s87, s[44:45], 0x10                           // 000000002D90: C00215D6 00000010
	s_load_dword s88, s[44:45], 0x20                           // 000000002D98: C0021616 00000020
	s_load_dword s89, s[44:45], 0x30                           // 000000002DA0: C0021656 00000030
	s_load_dword s90, s[44:45], 0x40                           // 000000002DA8: C0021696 00000040
	s_load_dword s91, s[44:45], 0x50                           // 000000002DB0: C00216D6 00000050
	s_load_dword s92, s[44:45], 0x60                           // 000000002DB8: C0021716 00000060
	s_load_dword s93, s[44:45], 0x70                           // 000000002DC0: C0021756 00000070
	s_waitcnt lgkmcnt(0)                                       // 000000002DC8: BF8CC07F
	v_lshlrev_b32_e32 v44, 2, v0                               // 000000002DCC: 24580082
	s_and_b32 s86, s86, 0xffffff                               // 000000002DD0: 8656FF56 00FFFFFF
	s_mul_i32 s60, s86, s68                                    // 000000002DD8: 923C4456
	v_add_u32_e64 v28, v44, s60                                // 000000002DDC: D134001C 0000792C
	s_and_b32 s87, s87, 0xffffff                               // 000000002DE4: 8657FF57 00FFFFFF
	s_mul_i32 s60, s87, s68                                    // 000000002DEC: 923C4457
	v_add_u32_e64 v29, v44, s60                                // 000000002DF0: D134001D 0000792C
	s_and_b32 s88, s88, 0xffffff                               // 000000002DF8: 8658FF58 00FFFFFF
	s_mul_i32 s60, s88, s68                                    // 000000002E00: 923C4458
	v_add_u32_e64 v30, v44, s60                                // 000000002E04: D134001E 0000792C
	s_and_b32 s89, s89, 0xffffff                               // 000000002E0C: 8659FF59 00FFFFFF
	s_mul_i32 s60, s89, s68                                    // 000000002E14: 923C4459
	v_add_u32_e64 v31, v44, s60                                // 000000002E18: D134001F 0000792C
	s_and_b32 s90, s90, 0xffffff                               // 000000002E20: 865AFF5A 00FFFFFF
	s_mul_i32 s60, s90, s68                                    // 000000002E28: 923C445A
	v_add_u32_e64 v32, v44, s60                                // 000000002E2C: D1340020 0000792C
	s_and_b32 s91, s91, 0xffffff                               // 000000002E34: 865BFF5B 00FFFFFF
	s_mul_i32 s60, s91, s68                                    // 000000002E3C: 923C445B
	v_add_u32_e64 v33, v44, s60                                // 000000002E40: D1340021 0000792C
	s_and_b32 s92, s92, 0xffffff                               // 000000002E48: 865CFF5C 00FFFFFF
	s_mul_i32 s60, s92, s68                                    // 000000002E50: 923C445C
	v_add_u32_e64 v34, v44, s60                                // 000000002E54: D1340022 0000792C
	s_and_b32 s93, s93, 0xffffff                               // 000000002E5C: 865DFF5D 00FFFFFF
	s_mul_i32 s60, s93, s68                                    // 000000002E64: 923C445D
	v_add_u32_e64 v35, v44, s60                                // 000000002E68: D1340023 0000792C
	s_mul_i32 s60, s5, 0x208                                   // 000000002E70: 923CFF05 00000208
	s_add_u32 s50, 0x4800, s60                                 // 000000002E78: 80323CFF 00004800
	s_add_u32 s51, 0x4100, s50                                 // 000000002E80: 803332FF 00004100
	v_lshrrev_b32_e32 v44, 4, v0                               // 000000002E88: 20580084
	v_lshlrev_b32_e32 v45, 1, v44                              // 000000002E8C: 245A5881
	v_and_b32_e32 v44, 15, v0                                  // 000000002E90: 2658008F
	v_mul_i32_i24_e32 v44, 0x82, v44                           // 000000002E94: 0C5858FF 00000082
	v_add_u32_e32 v45, v44, v45                                // 000000002E9C: 685A5B2C
	v_lshlrev_b32_e32 v2, 2, v45                               // 000000002EA0: 24045A82
	s_mul_i32 s60, s5, 32                                      // 000000002EA4: 923CA005
	v_add_u32_e32 v2, s60, v2                                  // 000000002EA8: 6804043C
	v_lshlrev_b32_e32 v44, 3, v0                               // 000000002EAC: 24580083
	s_mul_i32 s60, 0x200, s5                                   // 000000002EB0: 923C05FF 00000200
	v_add_u32_e32 v3, s60, v44                                 // 000000002EB8: 6806583C
	v_and_b32_e32 v44, 15, v0                                  // 000000002EBC: 2658008F
	v_lshlrev_b32_e32 v4, 3, v44                               // 000000002EC0: 24085883
	v_lshrrev_b32_e32 v44, 5, v0                               // 000000002EC4: 20580085
	v_lshlrev_b32_e32 v45, 5, v44                              // 000000002EC8: 245A5885
	v_and_b32_e32 v44, 31, v0                                  // 000000002ECC: 2658009F
	v_lshrrev_b32_e32 v46, 4, v44                              // 000000002ED0: 205C5884
	v_add_u32_e32 v45, v46, v45                                // 000000002ED4: 685A5B2E
	v_and_b32_e32 v44, 15, v0                                  // 000000002ED8: 2658008F
	v_lshlrev_b32_e32 v44, 1, v44                              // 000000002EDC: 24585881
	v_add_u32_e32 v45, v44, v45                                // 000000002EE0: 685A5B2C
	v_lshlrev_b32_e32 v44, 2, v45                              // 000000002EE4: 24585A82
	s_mul_i32 s60, 0x100, s5                                   // 000000002EE8: 923C05FF 00000100
	v_add_u32_e64 v12, v44, s60                                // 000000002EF0: D134000C 0000792C
	v_lshrrev_b32_e32 v44, 4, v0                               // 000000002EF8: 20580084
	v_lshlrev_b32_e32 v45, 6, v44                              // 000000002EFC: 245A5886
	v_and_b32_e32 v44, 15, v0                                  // 000000002F00: 2658008F
	v_lshlrev_b32_e32 v44, 1, v44                              // 000000002F04: 24585881
	v_add_u32_e32 v45, v44, v45                                // 000000002F08: 685A5B2C
	v_lshlrev_b32_e32 v13, 2, v45                              // 000000002F0C: 241A5A82
	s_mul_i32 s60, s2, 0x200                                   // 000000002F10: 923CFF02 00000200
	s_mul_i32 s60, s60, s69                                    // 000000002F18: 923C453C
	s_mul_i32 s61, s77, s72                                    // 000000002F1C: 923D484D
	s_add_u32 s60, s61, s60                                    // 000000002F20: 803C3C3D
	s_add_u32 s24, s60, s24                                    // 000000002F24: 8018183C
	s_addc_u32 s25, 0, s25                                     // 000000002F28: 82191980
	s_mul_i32 s60, s5, 16                                      // 000000002F2C: 923C9005
	s_mul_i32 s60, s60, s69                                    // 000000002F30: 923C453C
	v_lshlrev_b32_e32 v36, 4, v0                               // 000000002F34: 24480084
	v_add_u32_e32 v36, s60, v36                                // 000000002F38: 6848483C
	s_mul_i32 s60, 64, s69                                     // 000000002F3C: 923C45C0
	v_add_u32_e32 v37, s60, v36                                // 000000002F40: 684A483C
	v_add_u32_e32 v38, s60, v37                                // 000000002F44: 684C4A3C
	v_add_u32_e32 v39, s60, v38                                // 000000002F48: 684E4C3C
	v_add_u32_e32 v40, s60, v39                                // 000000002F4C: 68504E3C
	v_add_u32_e32 v41, s60, v40                                // 000000002F50: 6852503C
	v_add_u32_e32 v42, s60, v41                                // 000000002F54: 6854523C
	v_add_u32_e32 v43, s60, v42                                // 000000002F58: 6856543C
	s_mul_i32 s60, s2, 0x2000                                  // 000000002F5C: 923CFF02 00002000
	s_mul_i32 s61, s77, s73                                    // 000000002F64: 923D494D
	s_add_u32 s60, s61, s60                                    // 000000002F68: 803C3C3D
	s_add_u32 s12, s60, s12                                    // 000000002F6C: 800C0C3C
	s_addc_u32 s13, 0, s13                                     // 000000002F70: 820D0D80
	s_mul_i32 s60, s3, 32                                      // 000000002F74: 923CA003
	s_mul_i32 s60, 4, s60                                      // 000000002F78: 923C3C84
	s_add_u32 s40, s60, s40                                    // 000000002F7C: 8028283C
	s_addc_u32 s41, 0, s41                                     // 000000002F80: 82292980
	v_and_b32_e32 v44, 15, v0                                  // 000000002F84: 2658008F
	v_lshlrev_b32_e32 v8, 2, v44                               // 000000002F88: 24105882
	v_add_u32_e32 v9, 64, v8                                   // 000000002F8C: 681210C0
	v_lshrrev_b32_e32 v44, 4, v0                               // 000000002F90: 20580084
	v_lshlrev_b32_e32 v45, 2, v44                              // 000000002F94: 245A5882
	v_and_b32_e32 v44, 15, v0                                  // 000000002F98: 2658008F
	v_lshrrev_b32_e32 v46, 2, v44                              // 000000002F9C: 205C5882
	v_lshlrev_b32_e32 v46, 6, v46                              // 000000002FA0: 245C5C86
	v_add_u32_e32 v45, v46, v45                                // 000000002FA4: 685A5B2E
	v_and_b32_e32 v44, 3, v0                                   // 000000002FA8: 26580083
	v_add_u32_e32 v45, v44, v45                                // 000000002FAC: 685A5B2C
	v_lshlrev_b32_e32 v10, 2, v45                              // 000000002FB0: 24145A82
	v_add_u32_e32 v11, 0x400, v10                              // 000000002FB4: 681614FF 00000400
	s_mul_i32 s60, s5, 16                                      // 000000002FBC: 923C9005
	s_mul_i32 s60, s60, 4                                      // 000000002FC0: 923C843C
	v_add_u32_e32 v10, s60, v10                                // 000000002FC4: 6814143C
	v_add_u32_e32 v11, s60, v11                                // 000000002FC8: 6816163C
	v_mov_b32_e32 v5, v10                                      // 000000002FCC: 7E0A030A
	v_mov_b32_e32 v6, v10                                      // 000000002FD0: 7E0C030A
	s_mul_i32 s60, s2, 0x200                                   // 000000002FD4: 923CFF02 00000200
	s_mul_i32 s60, s60, 4                                      // 000000002FDC: 923C843C
	s_mul_i32 s61, s77, s74                                    // 000000002FE0: 923D4A4D
	s_add_u32 s61, s61, s60                                    // 000000002FE4: 803D3C3D
	s_mul_i32 s62, s77, s76                                    // 000000002FE8: 923E4C4D
	s_add_u32 s62, s62, s60                                    // 000000002FEC: 803E3C3E
	s_add_u32 s32, s61, s32                                    // 000000002FF0: 8020203D
	s_addc_u32 s33, 0, s33                                     // 000000002FF4: 82212180
	s_add_u32 s36, s62, s36                                    // 000000002FF8: 8024243E
	s_addc_u32 s37, 0, s37                                     // 000000002FFC: 82252580
	s_mul_i32 s60, s77, s75                                    // 000000003000: 923C4B4D
	s_add_u32 s16, s60, s16                                    // 000000003004: 8010103C
	s_addc_u32 s17, 0, s17                                     // 000000003008: 82111180
	s_add_u32 s28, s60, s28                                    // 00000000300C: 801C1C3C
	s_addc_u32 s29, 0, s29                                     // 000000003010: 821D1D80
	s_mov_b32 s57, 0x200                                       // 000000003014: BEB900FF 00000200
	s_mov_b32 s58, 0x1000                                      // 00000000301C: BEBA00FF 00001000
	s_mov_b32 s79, 0x400                                       // 000000003024: BECF00FF 00000400
	s_mov_b32 s84, 0x400                                       // 00000000302C: BED400FF 00000400
	s_mov_b32 s59, 0                                           // 000000003034: BEBB0080
	s_mul_i32 s60, s70, 0x100                                  // 000000003038: 923CFF46 00000100
	s_sub_u32 s56, s60, 0x1000                                 // 000000003040: 80B8FF3C 00001000
	s_mov_b32 s78, 0x1000                                      // 000000003048: BECE00FF 00001000
	s_mov_b32 s52, 0x7060302                                   // 000000003050: BEB400FF 07060302
	s_mov_b32 s53, 0x400                                       // 000000003058: BEB500FF 00000400
	s_mov_b32 s54, 0x40100                                     // 000000003060: BEB600FF 00040100
	s_mov_b32 s55, 0x4020100                                   // 000000003068: BEB700FF 04020100
	s_mov_b32 s6, 0x3fb8aa3b                                   // 000000003070: BE8600FF 3FB8AA3B
	s_mov_b32 s7, 0x3fb8aa3b                                   // 000000003078: BE8700FF 3FB8AA3B
	s_mov_b32 s82, 0xbd92220c                                  // 000000003080: BED200FF BD92220C
	s_mov_b32 s83, 0xbd92220c                                  // 000000003088: BED300FF BD92220C
	s_mov_b32 m0, s50                                          // 000000003090: BEFC0032
	buffer_load_dword v16, v10, s[32:35], 0 offen              // 000000003094: E0501000 8008100A
	buffer_load_dword v17, v11, s[32:35], 0 offen              // 00000000309C: E0501000 8008110B
	buffer_load_dword v18, v10, s[36:39], 0 offen              // 0000000030A4: E0501000 8009120A
	buffer_load_dword v19, v11, s[36:39], 0 offen              // 0000000030AC: E0501000 8009130B
	buffer_load_dword v20, v8, s[40:43], 0 offen               // 0000000030B4: E0501000 800A1408
	buffer_load_dword v21, v9, s[40:43], 0 offen               // 0000000030BC: E0501000 800A1509
	buffer_load_dword v14, v6, s[28:31], 0 offen               // 0000000030C4: E0501000 80070E06
	s_add_u32 s28, s84, s28                                    // 0000000030CC: 801C1C54
	s_addc_u32 s29, 0, s29                                     // 0000000030D0: 821D1D80
	buffer_load_dword v15, v6, s[28:31], 0 offen               // 0000000030D4: E0501000 80070F06
	s_add_u32 s28, s84, s28                                    // 0000000030DC: 801C1C54
	s_addc_u32 s29, 0, s29                                     // 0000000030E0: 821D1D80
	buffer_load_dword v28, s[20:23], 0 offen lds               // 0000000030E4: E0511000 8005001C
	buffer_load_dword v28, s[20:23], 0 offen offset:256 lds    // 0000000030EC: E0511100 8005001C
	s_add_u32 m0, 0x820, s50                                   // 0000000030F4: 807C32FF 00000820
	buffer_load_dword v29, s[20:23], 0 offen lds               // 0000000030FC: E0511000 8005001D
	buffer_load_dword v29, s[20:23], 0 offen offset:256 lds    // 000000003104: E0511100 8005001D
	s_add_u32 m0, 0x1040, s50                                  // 00000000310C: 807C32FF 00001040
	buffer_load_dword v30, s[20:23], 0 offen lds               // 000000003114: E0511000 8005001E
	buffer_load_dword v30, s[20:23], 0 offen offset:256 lds    // 00000000311C: E0511100 8005001E
	s_add_u32 m0, 0x1860, s50                                  // 000000003124: 807C32FF 00001860
	buffer_load_dword v31, s[20:23], 0 offen lds               // 00000000312C: E0511000 8005001F
	buffer_load_dword v31, s[20:23], 0 offen offset:256 lds    // 000000003134: E0511100 8005001F
	s_add_u32 m0, 0x2080, s50                                  // 00000000313C: 807C32FF 00002080
	buffer_load_dword v32, s[20:23], 0 offen lds               // 000000003144: E0511000 80050020
	buffer_load_dword v32, s[20:23], 0 offen offset:256 lds    // 00000000314C: E0511100 80050020
	s_add_u32 m0, 0x28a0, s50                                  // 000000003154: 807C32FF 000028A0
	buffer_load_dword v33, s[20:23], 0 offen lds               // 00000000315C: E0511000 80050021
	buffer_load_dword v33, s[20:23], 0 offen offset:256 lds    // 000000003164: E0511100 80050021
	s_add_u32 m0, 0x30c0, s50                                  // 00000000316C: 807C32FF 000030C0
	buffer_load_dword v34, s[20:23], 0 offen lds               // 000000003174: E0511000 80050022
	buffer_load_dword v34, s[20:23], 0 offen offset:256 lds    // 00000000317C: E0511100 80050022
	s_add_u32 m0, 0x38e0, s50                                  // 000000003184: 807C32FF 000038E0
	buffer_load_dword v35, s[20:23], 0 offen lds               // 00000000318C: E0511000 80050023
	buffer_load_dword v35, s[20:23], 0 offen offset:256 lds    // 000000003194: E0511100 80050023
	s_add_u32 m0, 0, s51                                       // 00000000319C: 807C3380
	s_add_u32 s20, s57, s20                                    // 0000000031A0: 80141439
	s_addc_u32 s21, 0, s21                                     // 0000000031A4: 82151580
	buffer_load_dword v28, s[20:23], 0 offen lds               // 0000000031A8: E0511000 8005001C
	buffer_load_dword v28, s[20:23], 0 offen offset:256 lds    // 0000000031B0: E0511100 8005001C
	s_add_u32 m0, 0x820, s51                                   // 0000000031B8: 807C33FF 00000820
	buffer_load_dword v29, s[20:23], 0 offen lds               // 0000000031C0: E0511000 8005001D
	buffer_load_dword v29, s[20:23], 0 offen offset:256 lds    // 0000000031C8: E0511100 8005001D
	s_add_u32 m0, 0x1040, s51                                  // 0000000031D0: 807C33FF 00001040
	buffer_load_dword v30, s[20:23], 0 offen lds               // 0000000031D8: E0511000 8005001E
	buffer_load_dword v30, s[20:23], 0 offen offset:256 lds    // 0000000031E0: E0511100 8005001E
	s_add_u32 m0, 0x1860, s51                                  // 0000000031E8: 807C33FF 00001860
	buffer_load_dword v31, s[20:23], 0 offen lds               // 0000000031F0: E0511000 8005001F
	buffer_load_dword v31, s[20:23], 0 offen offset:256 lds    // 0000000031F8: E0511100 8005001F
	s_add_u32 m0, 0x2080, s51                                  // 000000003200: 807C33FF 00002080
	buffer_load_dword v32, s[20:23], 0 offen lds               // 000000003208: E0511000 80050020
	buffer_load_dword v32, s[20:23], 0 offen offset:256 lds    // 000000003210: E0511100 80050020
	s_add_u32 m0, 0x28a0, s51                                  // 000000003218: 807C33FF 000028A0
	buffer_load_dword v33, s[20:23], 0 offen lds               // 000000003220: E0511000 80050021
	buffer_load_dword v33, s[20:23], 0 offen offset:256 lds    // 000000003228: E0511100 80050021
	s_add_u32 m0, 0x30c0, s51                                  // 000000003230: 807C33FF 000030C0
	buffer_load_dword v34, s[20:23], 0 offen lds               // 000000003238: E0511000 80050022
	buffer_load_dword v34, s[20:23], 0 offen offset:256 lds    // 000000003240: E0511100 80050022
	s_add_u32 m0, 0x38e0, s51                                  // 000000003248: 807C33FF 000038E0
	buffer_load_dword v35, s[20:23], 0 offen lds               // 000000003250: E0511000 80050023
	buffer_load_dword v35, s[20:23], 0 offen offset:256 lds    // 000000003258: E0511100 80050023
	s_add_u32 m0, 0, s50                                       // 000000003260: 807C3280
	s_add_u32 s20, s57, s20                                    // 000000003264: 80141439
	s_addc_u32 s21, 0, s21                                     // 000000003268: 82151580
	s_waitcnt vmcnt(16)                                        // 00000000326C: BF8C4F70
	s_barrier                                                  // 000000003270: BF8A0000
	ds_read_b64 v[192:193], v2 offset:18432                    // 000000003274: D8EC4800 C0000002
	ds_read_b64 v[196:197], v2 offset:26752                    // 00000000327C: D8EC6880 C4000002
	ds_read_b64 v[200:201], v2 offset:18560                    // 000000003284: D8EC4880 C8000002
	ds_read_b64 v[204:205], v2 offset:26880                    // 00000000328C: D8EC6900 CC000002
	ds_read_b64 v[208:209], v2 offset:18688                    // 000000003294: D8EC4900 D0000002
	ds_read_b64 v[212:213], v2 offset:27008                    // 00000000329C: D8EC6980 D4000002
	ds_read_b64 v[216:217], v2 offset:18816                    // 0000000032A4: D8EC4980 D8000002
	ds_read_b64 v[220:221], v2 offset:27136                    // 0000000032AC: D8EC6A00 DC000002
	s_waitcnt lgkmcnt(0)                                       // 0000000032B4: BF8CC07F
	buffer_load_dwordx4 a[0:3], v36, s[24:27], 0 offen         // 0000000032B8: E05C1000 80860024
	buffer_load_dwordx4 a[4:7], v36, s[24:27], 0 offen offset:1024// 0000000032C0: E05C1400 80860424
	buffer_load_dwordx4 a[8:11], v36, s[24:27], 0 offen offset:2048// 0000000032C8: E05C1800 80860824
	buffer_load_dwordx4 a[12:15], v36, s[24:27], 0 offen offset:3072// 0000000032D0: E05C1C00 80860C24
	buffer_load_dwordx4 a[16:19], v37, s[24:27], 0 offen       // 0000000032D8: E05C1000 80861025
	buffer_load_dwordx4 a[20:23], v37, s[24:27], 0 offen offset:1024// 0000000032E0: E05C1400 80861425
	buffer_load_dwordx4 a[24:27], v37, s[24:27], 0 offen offset:2048// 0000000032E8: E05C1800 80861825
	buffer_load_dwordx4 a[28:31], v37, s[24:27], 0 offen offset:3072// 0000000032F0: E05C1C00 80861C25
	buffer_load_dwordx4 a[32:35], v38, s[24:27], 0 offen       // 0000000032F8: E05C1000 80862026
	buffer_load_dwordx4 a[36:39], v38, s[24:27], 0 offen offset:1024// 000000003300: E05C1400 80862426
	buffer_load_dwordx4 a[40:43], v38, s[24:27], 0 offen offset:2048// 000000003308: E05C1800 80862826
	buffer_load_dwordx4 a[44:47], v38, s[24:27], 0 offen offset:3072// 000000003310: E05C1C00 80862C26
	buffer_load_dwordx4 a[48:51], v39, s[24:27], 0 offen       // 000000003318: E05C1000 80863027
	buffer_load_dwordx4 a[52:55], v39, s[24:27], 0 offen offset:1024// 000000003320: E05C1400 80863427
	buffer_load_dwordx4 a[56:59], v39, s[24:27], 0 offen offset:2048// 000000003328: E05C1800 80863827
	buffer_load_dwordx4 a[60:63], v39, s[24:27], 0 offen offset:3072// 000000003330: E05C1C00 80863C27
	buffer_load_dwordx4 a[64:67], v40, s[24:27], 0 offen       // 000000003338: E05C1000 80864028
	buffer_load_dwordx4 a[68:71], v40, s[24:27], 0 offen offset:1024// 000000003340: E05C1400 80864428
	buffer_load_dwordx4 a[72:75], v40, s[24:27], 0 offen offset:2048// 000000003348: E05C1800 80864828
	buffer_load_dwordx4 a[76:79], v40, s[24:27], 0 offen offset:3072// 000000003350: E05C1C00 80864C28
	buffer_load_dwordx4 a[80:83], v41, s[24:27], 0 offen       // 000000003358: E05C1000 80865029
	buffer_load_dwordx4 a[84:87], v41, s[24:27], 0 offen offset:1024// 000000003360: E05C1400 80865429
	buffer_load_dwordx4 a[88:91], v41, s[24:27], 0 offen offset:2048// 000000003368: E05C1800 80865829
	buffer_load_dwordx4 a[92:95], v41, s[24:27], 0 offen offset:3072// 000000003370: E05C1C00 80865C29
	buffer_load_dwordx4 a[96:99], v42, s[24:27], 0 offen       // 000000003378: E05C1000 8086602A
	buffer_load_dwordx4 a[100:103], v42, s[24:27], 0 offen offset:1024// 000000003380: E05C1400 8086642A
	buffer_load_dwordx4 a[104:107], v42, s[24:27], 0 offen offset:2048// 000000003388: E05C1800 8086682A
	buffer_load_dwordx4 a[108:111], v42, s[24:27], 0 offen offset:3072// 000000003390: E05C1C00 80866C2A
	buffer_load_dwordx4 a[112:115], v43, s[24:27], 0 offen     // 000000003398: E05C1000 8086702B
	buffer_load_dwordx4 a[116:119], v43, s[24:27], 0 offen offset:1024// 0000000033A0: E05C1400 8086742B
	buffer_load_dwordx4 a[120:123], v43, s[24:27], 0 offen offset:2048// 0000000033A8: E05C1800 8086782B
	buffer_load_dwordx4 a[124:127], v43, s[24:27], 0 offen offset:3072// 0000000033B0: E05C1C00 80867C2B
	s_add_u32 s24, s58, s24                                    // 0000000033B8: 8018183A
	s_addc_u32 s25, 0, s25                                     // 0000000033BC: 82191980
	v_and_b32_e32 v195, 0xffff0000, v193                       // 0000000033C0: 278782FF FFFF0000
	v_lshlrev_b32_e32 v194, 16, v193                           // 0000000033C8: 25858290
	v_and_b32_e32 v193, 0xffff0000, v192                       // 0000000033CC: 278380FF FFFF0000
	v_lshlrev_b32_e32 v192, 16, v192                           // 0000000033D4: 25818090
	v_and_b32_e32 v199, 0xffff0000, v197                       // 0000000033D8: 278F8AFF FFFF0000
	v_lshlrev_b32_e32 v198, 16, v197                           // 0000000033E0: 258D8A90
	v_and_b32_e32 v197, 0xffff0000, v196                       // 0000000033E4: 278B88FF FFFF0000
	v_lshlrev_b32_e32 v196, 16, v196                           // 0000000033EC: 25898890
	v_and_b32_e32 v203, 0xffff0000, v201                       // 0000000033F0: 279792FF FFFF0000
	v_lshlrev_b32_e32 v202, 16, v201                           // 0000000033F8: 25959290
	v_and_b32_e32 v201, 0xffff0000, v200                       // 0000000033FC: 279390FF FFFF0000
	v_lshlrev_b32_e32 v200, 16, v200                           // 000000003404: 25919090
	v_and_b32_e32 v207, 0xffff0000, v205                       // 000000003408: 279F9AFF FFFF0000
	v_lshlrev_b32_e32 v206, 16, v205                           // 000000003410: 259D9A90
	v_and_b32_e32 v205, 0xffff0000, v204                       // 000000003414: 279B98FF FFFF0000
	v_lshlrev_b32_e32 v204, 16, v204                           // 00000000341C: 25999890
	v_mul_f32_dpp v192, v14, v192 row_newbcast:0 row_mask:0xf bank_mask:0xf// 000000003420: 0B8180FA FF01500E
	v_mul_f32_dpp v193, v14, v193 row_newbcast:1 row_mask:0xf bank_mask:0xf// 000000003428: 0B8382FA FF01510E
	v_mul_f32_dpp v194, v14, v194 row_newbcast:2 row_mask:0xf bank_mask:0xf// 000000003430: 0B8584FA FF01520E
	v_mul_f32_dpp v195, v14, v195 row_newbcast:3 row_mask:0xf bank_mask:0xf// 000000003438: 0B8786FA FF01530E
	v_mul_f32_dpp v196, v14, v196 row_newbcast:0 row_mask:0xf bank_mask:0xf// 000000003440: 0B8988FA FF01500E
	v_mul_f32_dpp v197, v14, v197 row_newbcast:1 row_mask:0xf bank_mask:0xf// 000000003448: 0B8B8AFA FF01510E
	v_mul_f32_dpp v198, v14, v198 row_newbcast:2 row_mask:0xf bank_mask:0xf// 000000003450: 0B8D8CFA FF01520E
	v_mul_f32_dpp v199, v14, v199 row_newbcast:3 row_mask:0xf bank_mask:0xf// 000000003458: 0B8F8EFA FF01530E
	v_mul_f32_dpp v200, v14, v200 row_newbcast:4 row_mask:0xf bank_mask:0xf// 000000003460: 0B9190FA FF01540E
	v_mul_f32_dpp v201, v14, v201 row_newbcast:5 row_mask:0xf bank_mask:0xf// 000000003468: 0B9392FA FF01550E
	v_mul_f32_dpp v202, v14, v202 row_newbcast:6 row_mask:0xf bank_mask:0xf// 000000003470: 0B9594FA FF01560E
	v_mul_f32_dpp v203, v14, v203 row_newbcast:7 row_mask:0xf bank_mask:0xf// 000000003478: 0B9796FA FF01570E
	v_mul_f32_dpp v204, v14, v204 row_newbcast:4 row_mask:0xf bank_mask:0xf// 000000003480: 0B9998FA FF01540E
	v_mul_f32_dpp v205, v14, v205 row_newbcast:5 row_mask:0xf bank_mask:0xf// 000000003488: 0B9B9AFA FF01550E
	v_mul_f32_dpp v206, v14, v206 row_newbcast:6 row_mask:0xf bank_mask:0xf// 000000003490: 0B9D9CFA FF01560E
	v_mul_f32_dpp v207, v14, v207 row_newbcast:7 row_mask:0xf bank_mask:0xf// 000000003498: 0B9F9EFA FF01570E
	v_and_b32_e32 v211, 0xffff0000, v209                       // 0000000034A0: 27A7A2FF FFFF0000
	v_lshlrev_b32_e32 v210, 16, v209                           // 0000000034A8: 25A5A290
	v_and_b32_e32 v209, 0xffff0000, v208                       // 0000000034AC: 27A3A0FF FFFF0000
	v_lshlrev_b32_e32 v208, 16, v208                           // 0000000034B4: 25A1A090
	v_and_b32_e32 v215, 0xffff0000, v213                       // 0000000034B8: 27AFAAFF FFFF0000
	v_lshlrev_b32_e32 v214, 16, v213                           // 0000000034C0: 25ADAA90
	v_and_b32_e32 v213, 0xffff0000, v212                       // 0000000034C4: 27ABA8FF FFFF0000
	v_lshlrev_b32_e32 v212, 16, v212                           // 0000000034CC: 25A9A890
	v_and_b32_e32 v219, 0xffff0000, v217                       // 0000000034D0: 27B7B2FF FFFF0000
	v_lshlrev_b32_e32 v218, 16, v217                           // 0000000034D8: 25B5B290
	v_and_b32_e32 v217, 0xffff0000, v216                       // 0000000034DC: 27B3B0FF FFFF0000
	v_lshlrev_b32_e32 v216, 16, v216                           // 0000000034E4: 25B1B090
	v_and_b32_e32 v223, 0xffff0000, v221                       // 0000000034E8: 27BFBAFF FFFF0000
	v_lshlrev_b32_e32 v222, 16, v221                           // 0000000034F0: 25BDBA90
	v_and_b32_e32 v221, 0xffff0000, v220                       // 0000000034F4: 27BBB8FF FFFF0000
	v_lshlrev_b32_e32 v220, 16, v220                           // 0000000034FC: 25B9B890
	v_mul_f32_dpp v208, v14, v208 row_newbcast:8 row_mask:0xf bank_mask:0xf// 000000003500: 0BA1A0FA FF01580E
	v_mul_f32_dpp v209, v14, v209 row_newbcast:9 row_mask:0xf bank_mask:0xf// 000000003508: 0BA3A2FA FF01590E
	v_mul_f32_dpp v210, v14, v210 row_newbcast:10 row_mask:0xf bank_mask:0xf// 000000003510: 0BA5A4FA FF015A0E
	v_mul_f32_dpp v211, v14, v211 row_newbcast:11 row_mask:0xf bank_mask:0xf// 000000003518: 0BA7A6FA FF015B0E
	v_mul_f32_dpp v212, v14, v212 row_newbcast:8 row_mask:0xf bank_mask:0xf// 000000003520: 0BA9A8FA FF01580E
	v_mul_f32_dpp v213, v14, v213 row_newbcast:9 row_mask:0xf bank_mask:0xf// 000000003528: 0BABAAFA FF01590E
	v_mul_f32_dpp v214, v14, v214 row_newbcast:10 row_mask:0xf bank_mask:0xf// 000000003530: 0BADACFA FF015A0E
	v_mul_f32_dpp v215, v14, v215 row_newbcast:11 row_mask:0xf bank_mask:0xf// 000000003538: 0BAFAEFA FF015B0E
	v_mul_f32_dpp v216, v14, v216 row_newbcast:12 row_mask:0xf bank_mask:0xf// 000000003540: 0BB1B0FA FF015C0E
	v_mul_f32_dpp v217, v14, v217 row_newbcast:13 row_mask:0xf bank_mask:0xf// 000000003548: 0BB3B2FA FF015D0E
	v_mul_f32_dpp v218, v14, v218 row_newbcast:14 row_mask:0xf bank_mask:0xf// 000000003550: 0BB5B4FA FF015E0E
	v_mul_f32_dpp v219, v14, v219 row_newbcast:15 row_mask:0xf bank_mask:0xf// 000000003558: 0BB7B6FA FF015F0E
	v_mul_f32_dpp v220, v14, v220 row_newbcast:12 row_mask:0xf bank_mask:0xf// 000000003560: 0BB9B8FA FF015C0E
	v_mul_f32_dpp v221, v14, v221 row_newbcast:13 row_mask:0xf bank_mask:0xf// 000000003568: 0BBBBAFA FF015D0E
	v_mul_f32_dpp v222, v14, v222 row_newbcast:14 row_mask:0xf bank_mask:0xf// 000000003570: 0BBDBCFA FF015E0E
	v_mul_f32_dpp v223, v14, v223 row_newbcast:15 row_mask:0xf bank_mask:0xf// 000000003578: 0BBFBEFA FF015F0E
	v_mov_b32_e32 v48, 0x358637bd                              // 000000003580: 7E6002FF 358637BD
	v_mov_b32_e32 v49, 0x358637bd                              // 000000003588: 7E6202FF 358637BD
	v_max3_f32 v48, |v192|, |v193|, v48                        // 000000003590: D1D30330 04C383C0
	v_max3_f32 v48, |v194|, |v195|, v48                        // 000000003598: D1D30330 04C387C2
	v_max3_f32 v49, |v196|, |v197|, v49                        // 0000000035A0: D1D30331 04C78BC4
	v_max3_f32 v49, |v198|, |v199|, v49                        // 0000000035A8: D1D30331 04C78FC6
	v_max3_f32 v48, |v200|, |v201|, v48                        // 0000000035B0: D1D30330 04C393C8
	v_max3_f32 v48, |v202|, |v203|, v48                        // 0000000035B8: D1D30330 04C397CA
	v_max3_f32 v49, |v204|, |v205|, v49                        // 0000000035C0: D1D30331 04C79BCC
	v_max3_f32 v49, |v206|, |v207|, v49                        // 0000000035C8: D1D30331 04C79FCE
	v_max3_f32 v48, |v208|, |v209|, v48                        // 0000000035D0: D1D30330 04C3A3D0
	v_max3_f32 v48, |v210|, |v211|, v48                        // 0000000035D8: D1D30330 04C3A7D2
	v_max3_f32 v49, |v212|, |v213|, v49                        // 0000000035E0: D1D30331 04C7ABD4
	v_max3_f32 v49, |v214|, |v215|, v49                        // 0000000035E8: D1D30331 04C7AFD6
	v_max3_f32 v48, |v216|, |v217|, v48                        // 0000000035F0: D1D30330 04C3B3D8
	v_max3_f32 v48, |v218|, |v219|, v48                        // 0000000035F8: D1D30330 04C3B7DA
	v_max3_f32 v49, |v220|, |v221|, v49                        // 000000003600: D1D30331 04C7BBDC
	v_max3_f32 v49, |v222|, |v223|, v49                        // 000000003608: D1D30331 04C7BFDE
	ds_write_b64 v3, v[48:49]                                  // 000000003610: D89A0000 00003003
	s_waitcnt lgkmcnt(0)                                       // 000000003618: BF8CC07F
	s_barrier                                                  // 00000000361C: BF8A0000
	ds_read_b64 v[48:49], v4                                   // 000000003620: D8EC0000 30000004
	ds_read_b64 v[50:51], v4 offset:128                        // 000000003628: D8EC0080 32000004
	ds_read_b64 v[52:53], v4 offset:256                        // 000000003630: D8EC0100 34000004
	ds_read_b64 v[54:55], v4 offset:384                        // 000000003638: D8EC0180 36000004
	ds_read_b64 v[56:57], v4 offset:512                        // 000000003640: D8EC0200 38000004
	ds_read_b64 v[58:59], v4 offset:640                        // 000000003648: D8EC0280 3A000004
	ds_read_b64 v[60:61], v4 offset:768                        // 000000003650: D8EC0300 3C000004
	ds_read_b64 v[62:63], v4 offset:896                        // 000000003658: D8EC0380 3E000004
	s_waitcnt lgkmcnt(0)                                       // 000000003660: BF8CC07F
	v_mov_b32_e32 v22, 0x358637bd                              // 000000003664: 7E2C02FF 358637BD
	v_mov_b32_e32 v23, 0x358637bd                              // 00000000366C: 7E2E02FF 358637BD
	v_max3_f32 v22, |v48|, |v50|, v22                          // 000000003674: D1D30316 045A6530
	v_max3_f32 v23, |v49|, |v51|, v23                          // 00000000367C: D1D30317 045E6731
	v_max3_f32 v22, |v52|, |v54|, v22                          // 000000003684: D1D30316 045A6D34
	v_max3_f32 v23, |v53|, |v55|, v23                          // 00000000368C: D1D30317 045E6F35
	v_max3_f32 v22, |v56|, |v58|, v22                          // 000000003694: D1D30316 045A7538
	v_max3_f32 v23, |v57|, |v59|, v23                          // 00000000369C: D1D30317 045E7739
	v_max3_f32 v22, |v60|, |v62|, v22                          // 0000000036A4: D1D30316 045A7D3C
	v_max3_f32 v23, |v61|, |v63|, v23                          // 0000000036AC: D1D30317 045E7F3D
	ds_read_b64 v[48:49], v4 offset:1024                       // 0000000036B4: D8EC0400 30000004
	ds_read_b64 v[50:51], v4 offset:1152                       // 0000000036BC: D8EC0480 32000004
	ds_read_b64 v[52:53], v4 offset:1280                       // 0000000036C4: D8EC0500 34000004
	ds_read_b64 v[54:55], v4 offset:1408                       // 0000000036CC: D8EC0580 36000004
	ds_read_b64 v[56:57], v4 offset:1536                       // 0000000036D4: D8EC0600 38000004
	ds_read_b64 v[58:59], v4 offset:1664                       // 0000000036DC: D8EC0680 3A000004
	ds_read_b64 v[60:61], v4 offset:1792                       // 0000000036E4: D8EC0700 3C000004
	ds_read_b64 v[62:63], v4 offset:1920                       // 0000000036EC: D8EC0780 3E000004
	s_waitcnt lgkmcnt(0)                                       // 0000000036F4: BF8CC07F
	v_max3_f32 v22, |v48|, |v50|, v22                          // 0000000036F8: D1D30316 045A6530
	v_max3_f32 v23, |v49|, |v51|, v23                          // 000000003700: D1D30317 045E6731
	v_max3_f32 v22, |v52|, |v54|, v22                          // 000000003708: D1D30316 045A6D34
	v_max3_f32 v23, |v53|, |v55|, v23                          // 000000003710: D1D30317 045E6F35
	v_max3_f32 v22, |v56|, |v58|, v22                          // 000000003718: D1D30316 045A7538
	v_max3_f32 v23, |v57|, |v59|, v23                          // 000000003720: D1D30317 045E7739
	v_max3_f32 v22, |v60|, |v62|, v22                          // 000000003728: D1D30316 045A7D3C
	v_max3_f32 v23, |v61|, |v63|, v23                          // 000000003730: D1D30317 045E7F3D
	v_rcp_f32_e32 v22, v22                                     // 000000003738: 7E2C4516
	v_rcp_f32_e32 v23, v23                                     // 00000000373C: 7E2E4517
	s_nop 1                                                    // 000000003740: BF800001
	v_mul_f32_e32 v22, 0x42fe0000, v22                         // 000000003744: 0A2C2CFF 42FE0000
	v_mul_f32_e32 v23, 0x42fe0000, v23                         // 00000000374C: 0A2E2EFF 42FE0000
	v_rcp_f32_e32 v24, v22                                     // 000000003754: 7E304516
	v_rcp_f32_e32 v25, v23                                     // 000000003758: 7E324517
	v_mul_f32_e32 v192, v22, v192                              // 00000000375C: 0B818116
	v_mul_f32_e32 v193, v22, v193                              // 000000003760: 0B838316
	v_mul_f32_e32 v194, v22, v194                              // 000000003764: 0B858516
	v_mul_f32_e32 v195, v22, v195                              // 000000003768: 0B878716
	v_cvt_i32_f32_e32 v192, v192                               // 00000000376C: 7F8011C0
	v_cvt_i32_f32_e32 v193, v193                               // 000000003770: 7F8211C1
	v_cvt_i32_f32_e32 v194, v194                               // 000000003774: 7F8411C2
	v_cvt_i32_f32_e32 v195, v195                               // 000000003778: 7F8611C3
	v_perm_b32 v192, v193, v192, s53                           // 00000000377C: D1ED00C0 00D781C1
	v_perm_b32 v192, v194, v192, s54                           // 000000003784: D1ED00C0 00DB81C2
	v_perm_b32 v192, v195, v192, s55                           // 00000000378C: D1ED00C0 00DF81C3
	v_mul_f32_e32 v196, v23, v196                              // 000000003794: 0B898917
	v_mul_f32_e32 v197, v23, v197                              // 000000003798: 0B8B8B17
	v_mul_f32_e32 v198, v23, v198                              // 00000000379C: 0B8D8D17
	v_mul_f32_e32 v199, v23, v199                              // 0000000037A0: 0B8F8F17
	v_cvt_i32_f32_e32 v196, v196                               // 0000000037A4: 7F8811C4
	v_cvt_i32_f32_e32 v197, v197                               // 0000000037A8: 7F8A11C5
	v_cvt_i32_f32_e32 v198, v198                               // 0000000037AC: 7F8C11C6
	v_cvt_i32_f32_e32 v199, v199                               // 0000000037B0: 7F8E11C7
	v_perm_b32 v193, v197, v196, s53                           // 0000000037B4: D1ED00C1 00D789C5
	v_perm_b32 v193, v198, v193, s54                           // 0000000037BC: D1ED00C1 00DB83C6
	v_perm_b32 v193, v199, v193, s55                           // 0000000037C4: D1ED00C1 00DF83C7
	v_mul_f32_e32 v200, v22, v200                              // 0000000037CC: 0B919116
	v_mul_f32_e32 v201, v22, v201                              // 0000000037D0: 0B939316
	v_mul_f32_e32 v202, v22, v202                              // 0000000037D4: 0B959516
	v_mul_f32_e32 v203, v22, v203                              // 0000000037D8: 0B979716
	v_cvt_i32_f32_e32 v200, v200                               // 0000000037DC: 7F9011C8
	v_cvt_i32_f32_e32 v201, v201                               // 0000000037E0: 7F9211C9
	v_cvt_i32_f32_e32 v202, v202                               // 0000000037E4: 7F9411CA
	v_cvt_i32_f32_e32 v203, v203                               // 0000000037E8: 7F9611CB
	v_perm_b32 v194, v201, v200, s53                           // 0000000037EC: D1ED00C2 00D791C9
	v_perm_b32 v194, v202, v194, s54                           // 0000000037F4: D1ED00C2 00DB85CA
	v_perm_b32 v194, v203, v194, s55                           // 0000000037FC: D1ED00C2 00DF85CB
	v_mul_f32_e32 v204, v23, v204                              // 000000003804: 0B999917
	v_mul_f32_e32 v205, v23, v205                              // 000000003808: 0B9B9B17
	v_mul_f32_e32 v206, v23, v206                              // 00000000380C: 0B9D9D17
	v_mul_f32_e32 v207, v23, v207                              // 000000003810: 0B9F9F17
	v_cvt_i32_f32_e32 v204, v204                               // 000000003814: 7F9811CC
	v_cvt_i32_f32_e32 v205, v205                               // 000000003818: 7F9A11CD
	v_cvt_i32_f32_e32 v206, v206                               // 00000000381C: 7F9C11CE
	v_cvt_i32_f32_e32 v207, v207                               // 000000003820: 7F9E11CF
	v_perm_b32 v195, v205, v204, s53                           // 000000003824: D1ED00C3 00D799CD
	v_perm_b32 v195, v206, v195, s54                           // 00000000382C: D1ED00C3 00DB87CE
	v_perm_b32 v195, v207, v195, s55                           // 000000003834: D1ED00C3 00DF87CF
	v_mul_f32_e32 v208, v22, v208                              // 00000000383C: 0BA1A116
	v_mul_f32_e32 v209, v22, v209                              // 000000003840: 0BA3A316
	v_mul_f32_e32 v210, v22, v210                              // 000000003844: 0BA5A516
	v_mul_f32_e32 v211, v22, v211                              // 000000003848: 0BA7A716
	v_cvt_i32_f32_e32 v208, v208                               // 00000000384C: 7FA011D0
	v_cvt_i32_f32_e32 v209, v209                               // 000000003850: 7FA211D1
	v_cvt_i32_f32_e32 v210, v210                               // 000000003854: 7FA411D2
	v_cvt_i32_f32_e32 v211, v211                               // 000000003858: 7FA611D3
	v_perm_b32 v196, v209, v208, s53                           // 00000000385C: D1ED00C4 00D7A1D1
	v_perm_b32 v196, v210, v196, s54                           // 000000003864: D1ED00C4 00DB89D2
	v_perm_b32 v196, v211, v196, s55                           // 00000000386C: D1ED00C4 00DF89D3
	v_mul_f32_e32 v212, v23, v212                              // 000000003874: 0BA9A917
	v_mul_f32_e32 v213, v23, v213                              // 000000003878: 0BABAB17
	v_mul_f32_e32 v214, v23, v214                              // 00000000387C: 0BADAD17
	v_mul_f32_e32 v215, v23, v215                              // 000000003880: 0BAFAF17
	v_cvt_i32_f32_e32 v212, v212                               // 000000003884: 7FA811D4
	v_cvt_i32_f32_e32 v213, v213                               // 000000003888: 7FAA11D5
	v_cvt_i32_f32_e32 v214, v214                               // 00000000388C: 7FAC11D6
	v_cvt_i32_f32_e32 v215, v215                               // 000000003890: 7FAE11D7
	v_perm_b32 v197, v213, v212, s53                           // 000000003894: D1ED00C5 00D7A9D5
	v_perm_b32 v197, v214, v197, s54                           // 00000000389C: D1ED00C5 00DB8BD6
	v_perm_b32 v197, v215, v197, s55                           // 0000000038A4: D1ED00C5 00DF8BD7
	v_mul_f32_e32 v216, v22, v216                              // 0000000038AC: 0BB1B116
	v_mul_f32_e32 v217, v22, v217                              // 0000000038B0: 0BB3B316
	v_mul_f32_e32 v218, v22, v218                              // 0000000038B4: 0BB5B516
	v_mul_f32_e32 v219, v22, v219                              // 0000000038B8: 0BB7B716
	v_cvt_i32_f32_e32 v216, v216                               // 0000000038BC: 7FB011D8
	v_cvt_i32_f32_e32 v217, v217                               // 0000000038C0: 7FB211D9
	v_cvt_i32_f32_e32 v218, v218                               // 0000000038C4: 7FB411DA
	v_cvt_i32_f32_e32 v219, v219                               // 0000000038C8: 7FB611DB
	v_perm_b32 v198, v217, v216, s53                           // 0000000038CC: D1ED00C6 00D7B1D9
	v_perm_b32 v198, v218, v198, s54                           // 0000000038D4: D1ED00C6 00DB8DDA
	v_perm_b32 v198, v219, v198, s55                           // 0000000038DC: D1ED00C6 00DF8DDB
	v_mul_f32_e32 v220, v23, v220                              // 0000000038E4: 0BB9B917
	v_mul_f32_e32 v221, v23, v221                              // 0000000038E8: 0BBBBB17
	v_mul_f32_e32 v222, v23, v222                              // 0000000038EC: 0BBDBD17
	v_mul_f32_e32 v223, v23, v223                              // 0000000038F0: 0BBFBF17
	v_cvt_i32_f32_e32 v220, v220                               // 0000000038F4: 7FB811DC
	v_cvt_i32_f32_e32 v221, v221                               // 0000000038F8: 7FBA11DD
	v_cvt_i32_f32_e32 v222, v222                               // 0000000038FC: 7FBC11DE
	v_cvt_i32_f32_e32 v223, v223                               // 000000003900: 7FBE11DF
	v_perm_b32 v199, v221, v220, s53                           // 000000003904: D1ED00C7 00D7B9DD
	v_perm_b32 v199, v222, v199, s54                           // 00000000390C: D1ED00C7 00DB8FDE
	v_perm_b32 v199, v223, v199, s55                           // 000000003914: D1ED00C7 00DF8FDF
	ds_write_b32 v12, v192 offset:2048                         // 00000000391C: D81A0800 0000C00C
	ds_write_b32 v12, v193 offset:6144                         // 000000003924: D81A1800 0000C10C
	ds_write_b32 v12, v194 offset:3072                         // 00000000392C: D81A0C00 0000C20C
	ds_write_b32 v12, v195 offset:7168                         // 000000003934: D81A1C00 0000C30C
	ds_write_b32 v12, v196 offset:4096                         // 00000000393C: D81A1000 0000C40C
	ds_write_b32 v12, v197 offset:8192                         // 000000003944: D81A2000 0000C50C
	ds_write_b32 v12, v198 offset:5120                         // 00000000394C: D81A1400 0000C60C
	ds_write_b32 v12, v199 offset:9216                         // 000000003954: D81A2400 0000C70C
	s_waitcnt lgkmcnt(0)                                       // 00000000395C: BF8CC07F
	s_barrier                                                  // 000000003960: BF8A0000
	ds_read_b64 v[192:193], v13 offset:2048                    // 000000003964: D8EC0800 C000000D
	ds_read_b64 v[194:195], v13 offset:2176                    // 00000000396C: D8EC0880 C200000D
	ds_read_b64 v[196:197], v13 offset:3072                    // 000000003974: D8EC0C00 C400000D
	ds_read_b64 v[198:199], v13 offset:3200                    // 00000000397C: D8EC0C80 C600000D
	ds_read_b64 v[200:201], v13 offset:4096                    // 000000003984: D8EC1000 C800000D
	ds_read_b64 v[202:203], v13 offset:4224                    // 00000000398C: D8EC1080 CA00000D
	ds_read_b64 v[204:205], v13 offset:5120                    // 000000003994: D8EC1400 CC00000D
	ds_read_b64 v[206:207], v13 offset:5248                    // 00000000399C: D8EC1480 CE00000D
	ds_read_b64 v[208:209], v13 offset:6144                    // 0000000039A4: D8EC1800 D000000D
	ds_read_b64 v[210:211], v13 offset:6272                    // 0000000039AC: D8EC1880 D200000D
	ds_read_b64 v[212:213], v13 offset:7168                    // 0000000039B4: D8EC1C00 D400000D
	ds_read_b64 v[214:215], v13 offset:7296                    // 0000000039BC: D8EC1C80 D600000D
	ds_read_b64 v[216:217], v13 offset:8192                    // 0000000039C4: D8EC2000 D800000D
	ds_read_b64 v[218:219], v13 offset:8320                    // 0000000039CC: D8EC2080 DA00000D
	ds_read_b64 v[220:221], v13 offset:9216                    // 0000000039D4: D8EC2400 DC00000D
	ds_read_b64 v[222:223], v13 offset:9344                    // 0000000039DC: D8EC2480 DE00000D
	v_mov_b32_e32 v64, 0                                       // 0000000039E4: 7E800280
	v_mov_b32_e32 v65, 0                                       // 0000000039E8: 7E820280
	v_mov_b32_e32 v66, 0                                       // 0000000039EC: 7E840280
	v_mov_b32_e32 v67, 0                                       // 0000000039F0: 7E860280
	v_mov_b32_e32 v68, 0                                       // 0000000039F4: 7E880280
	v_mov_b32_e32 v69, 0                                       // 0000000039F8: 7E8A0280
	v_mov_b32_e32 v70, 0                                       // 0000000039FC: 7E8C0280
	v_mov_b32_e32 v71, 0                                       // 000000003A00: 7E8E0280
	v_mov_b32_e32 v72, 0                                       // 000000003A04: 7E900280
	v_mov_b32_e32 v73, 0                                       // 000000003A08: 7E920280
	v_mov_b32_e32 v74, 0                                       // 000000003A0C: 7E940280
	v_mov_b32_e32 v75, 0                                       // 000000003A10: 7E960280
	v_mov_b32_e32 v76, 0                                       // 000000003A14: 7E980280
	v_mov_b32_e32 v77, 0                                       // 000000003A18: 7E9A0280
	v_mov_b32_e32 v78, 0                                       // 000000003A1C: 7E9C0280
	v_mov_b32_e32 v79, 0                                       // 000000003A20: 7E9E0280
	v_mov_b32_e32 v80, 0                                       // 000000003A24: 7EA00280
	v_mov_b32_e32 v81, 0                                       // 000000003A28: 7EA20280
	v_mov_b32_e32 v82, 0                                       // 000000003A2C: 7EA40280
	v_mov_b32_e32 v83, 0                                       // 000000003A30: 7EA60280
	v_mov_b32_e32 v84, 0                                       // 000000003A34: 7EA80280
	v_mov_b32_e32 v85, 0                                       // 000000003A38: 7EAA0280
	v_mov_b32_e32 v86, 0                                       // 000000003A3C: 7EAC0280
	v_mov_b32_e32 v87, 0                                       // 000000003A40: 7EAE0280
	v_mov_b32_e32 v88, 0                                       // 000000003A44: 7EB00280
	v_mov_b32_e32 v89, 0                                       // 000000003A48: 7EB20280
	v_mov_b32_e32 v90, 0                                       // 000000003A4C: 7EB40280
	v_mov_b32_e32 v91, 0                                       // 000000003A50: 7EB60280
	v_mov_b32_e32 v92, 0                                       // 000000003A54: 7EB80280
	v_mov_b32_e32 v93, 0                                       // 000000003A58: 7EBA0280
	v_mov_b32_e32 v94, 0                                       // 000000003A5C: 7EBC0280
	v_mov_b32_e32 v95, 0                                       // 000000003A60: 7EBE0280
	v_mov_b32_e32 v96, 0                                       // 000000003A64: 7EC00280
	v_mov_b32_e32 v97, 0                                       // 000000003A68: 7EC20280
	v_mov_b32_e32 v98, 0                                       // 000000003A6C: 7EC40280
	v_mov_b32_e32 v99, 0                                       // 000000003A70: 7EC60280
	v_mov_b32_e32 v100, 0                                      // 000000003A74: 7EC80280
	v_mov_b32_e32 v101, 0                                      // 000000003A78: 7ECA0280
	v_mov_b32_e32 v102, 0                                      // 000000003A7C: 7ECC0280
	v_mov_b32_e32 v103, 0                                      // 000000003A80: 7ECE0280
	v_mov_b32_e32 v104, 0                                      // 000000003A84: 7ED00280
	v_mov_b32_e32 v105, 0                                      // 000000003A88: 7ED20280
	v_mov_b32_e32 v106, 0                                      // 000000003A8C: 7ED40280
	v_mov_b32_e32 v107, 0                                      // 000000003A90: 7ED60280
	v_mov_b32_e32 v108, 0                                      // 000000003A94: 7ED80280
	v_mov_b32_e32 v109, 0                                      // 000000003A98: 7EDA0280
	v_mov_b32_e32 v110, 0                                      // 000000003A9C: 7EDC0280
	v_mov_b32_e32 v111, 0                                      // 000000003AA0: 7EDE0280
	v_mov_b32_e32 v112, 0                                      // 000000003AA4: 7EE00280
	v_mov_b32_e32 v113, 0                                      // 000000003AA8: 7EE20280
	v_mov_b32_e32 v114, 0                                      // 000000003AAC: 7EE40280
	v_mov_b32_e32 v115, 0                                      // 000000003AB0: 7EE60280
	v_mov_b32_e32 v116, 0                                      // 000000003AB4: 7EE80280
	v_mov_b32_e32 v117, 0                                      // 000000003AB8: 7EEA0280
	v_mov_b32_e32 v118, 0                                      // 000000003ABC: 7EEC0280
	v_mov_b32_e32 v119, 0                                      // 000000003AC0: 7EEE0280
	v_mov_b32_e32 v120, 0                                      // 000000003AC4: 7EF00280
	v_mov_b32_e32 v121, 0                                      // 000000003AC8: 7EF20280
	v_mov_b32_e32 v122, 0                                      // 000000003ACC: 7EF40280
	v_mov_b32_e32 v123, 0                                      // 000000003AD0: 7EF60280
	v_mov_b32_e32 v124, 0                                      // 000000003AD4: 7EF80280
	v_mov_b32_e32 v125, 0                                      // 000000003AD8: 7EFA0280
	v_mov_b32_e32 v126, 0                                      // 000000003ADC: 7EFC0280
	v_mov_b32_e32 v127, 0                                      // 000000003AE0: 7EFE0280
	s_waitcnt vmcnt(16)                                        // 000000003AE4: BF8C4F70
	s_cmp_lt_i32 s5, 2                                         // 000000003AE8: BF048205
	s_cbranch_scc0 label_17FD                                  // 000000003AEC: BF841401

0000000000003af0 <label_03FC>:
	s_waitcnt vmcnt(24) lgkmcnt(0)                             // 000000003AF0: BF8C4078
	s_barrier                                                  // 000000003AF4: BF8A0000
	v_mfma_i32_16x16x32_i8 v[128:131], a[0:1], v[192:193], 0   // 000000003AF8: D3D70080 0A038100
	ds_read_b64 v[224:225], v2 offset:35072                    // 000000003B00: D8EC8900 E0000002
	ds_read_b64 v[228:229], v2 offset:43392                    // 000000003B08: D8ECA980 E4000002
	v_mfma_i32_16x16x32_i8 v[128:131], a[2:3], v[194:195], v[128:131]// 000000003B10: D3D70080 0E038502
	buffer_load_dwordx4 a[128:131], v36, s[24:27], 0 offen     // 000000003B18: E05C1000 80868024
	v_mfma_i32_16x16x32_i8 v[128:131], a[4:5], v[196:197], v[128:131]// 000000003B20: D3D70080 0E038904
	ds_read_b64 v[232:233], v2 offset:35200                    // 000000003B28: D8EC8980 E8000002
	ds_read_b64 v[236:237], v2 offset:43520                    // 000000003B30: D8ECAA00 EC000002
	v_mfma_i32_16x16x32_i8 v[128:131], a[6:7], v[198:199], v[128:131]// 000000003B38: D3D70080 0E038D06
	buffer_load_dword v28, s[20:23], 0 offen lds               // 000000003B40: E0511000 8005001C
	buffer_load_dword v28, s[20:23], 0 offen offset:256 lds    // 000000003B48: E0511100 8005001C
	s_add_u32 m0, 0x820, s50                                   // 000000003B50: 807C32FF 00000820
	buffer_load_dword v14, v6, s[28:31], 0 offen               // 000000003B58: E0501000 80070E06
	v_mfma_i32_16x16x32_i8 v[128:131], a[8:9], v[200:201], v[128:131]// 000000003B60: D3D70080 0E039108
	ds_read_b64 v[240:241], v2 offset:35328                    // 000000003B68: D8EC8A00 F0000002
	ds_read_b64 v[244:245], v2 offset:43648                    // 000000003B70: D8ECAA80 F4000002
	v_mfma_i32_16x16x32_i8 v[128:131], a[10:11], v[202:203], v[128:131]// 000000003B78: D3D70080 0E03950A
	buffer_load_dwordx4 a[132:135], v36, s[24:27], 0 offen offset:1024// 000000003B80: E05C1400 80868424
	v_mfma_i32_16x16x32_i8 v[128:131], a[12:13], v[204:205], v[128:131]// 000000003B88: D3D70080 0E03990C
	ds_read_b64 v[248:249], v2 offset:35456                    // 000000003B90: D8EC8A80 F8000002
	ds_read_b64 v[252:253], v2 offset:43776                    // 000000003B98: D8ECAB00 FC000002
	v_mfma_i32_16x16x32_i8 v[128:131], a[14:15], v[206:207], v[128:131]// 000000003BA0: D3D70080 0E039D0E
	buffer_load_dword v29, s[20:23], 0 offen lds               // 000000003BA8: E0511000 8005001D
	buffer_load_dword v29, s[20:23], 0 offen offset:256 lds    // 000000003BB0: E0511100 8005001D
	s_add_u32 m0, 0x1040, s50                                  // 000000003BB8: 807C32FF 00001040
	s_waitcnt lgkmcnt(4)                                       // 000000003BC0: BF8CC47F
	v_and_b32_e32 v227, 0xffff0000, v225                       // 000000003BC4: 27C7C2FF FFFF0000
	v_lshlrev_b32_e32 v226, 16, v225                           // 000000003BCC: 25C5C290
	v_and_b32_e32 v225, 0xffff0000, v224                       // 000000003BD0: 27C3C0FF FFFF0000
	v_lshlrev_b32_e32 v224, 16, v224                           // 000000003BD8: 25C1C090
	v_and_b32_e32 v231, 0xffff0000, v229                       // 000000003BDC: 27CFCAFF FFFF0000
	v_lshlrev_b32_e32 v230, 16, v229                           // 000000003BE4: 25CDCA90
	v_and_b32_e32 v229, 0xffff0000, v228                       // 000000003BE8: 27CBC8FF FFFF0000
	v_lshlrev_b32_e32 v228, 16, v228                           // 000000003BF0: 25C9C890
	v_and_b32_e32 v235, 0xffff0000, v233                       // 000000003BF4: 27D7D2FF FFFF0000
	v_lshlrev_b32_e32 v234, 16, v233                           // 000000003BFC: 25D5D290
	v_and_b32_e32 v233, 0xffff0000, v232                       // 000000003C00: 27D3D0FF FFFF0000
	v_lshlrev_b32_e32 v232, 16, v232                           // 000000003C08: 25D1D090
	v_and_b32_e32 v239, 0xffff0000, v237                       // 000000003C0C: 27DFDAFF FFFF0000
	v_lshlrev_b32_e32 v238, 16, v237                           // 000000003C14: 25DDDA90
	v_and_b32_e32 v237, 0xffff0000, v236                       // 000000003C18: 27DBD8FF FFFF0000
	v_lshlrev_b32_e32 v236, 16, v236                           // 000000003C20: 25D9D890
	v_mul_f32_dpp v224, v15, v224 row_newbcast:0 row_mask:0xf bank_mask:0xf// 000000003C24: 0BC1C0FA FF01500F
	v_mul_f32_dpp v225, v15, v225 row_newbcast:1 row_mask:0xf bank_mask:0xf// 000000003C2C: 0BC3C2FA FF01510F
	v_mul_f32_dpp v226, v15, v226 row_newbcast:2 row_mask:0xf bank_mask:0xf// 000000003C34: 0BC5C4FA FF01520F
	v_mul_f32_dpp v227, v15, v227 row_newbcast:3 row_mask:0xf bank_mask:0xf// 000000003C3C: 0BC7C6FA FF01530F
	v_mul_f32_dpp v228, v15, v228 row_newbcast:0 row_mask:0xf bank_mask:0xf// 000000003C44: 0BC9C8FA FF01500F
	v_mul_f32_dpp v229, v15, v229 row_newbcast:1 row_mask:0xf bank_mask:0xf// 000000003C4C: 0BCBCAFA FF01510F
	v_mul_f32_dpp v230, v15, v230 row_newbcast:2 row_mask:0xf bank_mask:0xf// 000000003C54: 0BCDCCFA FF01520F
	v_mul_f32_dpp v231, v15, v231 row_newbcast:3 row_mask:0xf bank_mask:0xf// 000000003C5C: 0BCFCEFA FF01530F
	v_mul_f32_dpp v232, v15, v232 row_newbcast:4 row_mask:0xf bank_mask:0xf// 000000003C64: 0BD1D0FA FF01540F
	v_mul_f32_dpp v233, v15, v233 row_newbcast:5 row_mask:0xf bank_mask:0xf// 000000003C6C: 0BD3D2FA FF01550F
	v_mul_f32_dpp v234, v15, v234 row_newbcast:6 row_mask:0xf bank_mask:0xf// 000000003C74: 0BD5D4FA FF01560F
	v_mul_f32_dpp v235, v15, v235 row_newbcast:7 row_mask:0xf bank_mask:0xf// 000000003C7C: 0BD7D6FA FF01570F
	v_mul_f32_dpp v236, v15, v236 row_newbcast:4 row_mask:0xf bank_mask:0xf// 000000003C84: 0BD9D8FA FF01540F
	v_mul_f32_dpp v237, v15, v237 row_newbcast:5 row_mask:0xf bank_mask:0xf// 000000003C8C: 0BDBDAFA FF01550F
	v_mul_f32_dpp v238, v15, v238 row_newbcast:6 row_mask:0xf bank_mask:0xf// 000000003C94: 0BDDDCFA FF01560F
	v_mul_f32_dpp v239, v15, v239 row_newbcast:7 row_mask:0xf bank_mask:0xf// 000000003C9C: 0BDFDEFA FF01570F
	v_mfma_i32_16x16x32_i8 v[132:135], a[0:1], v[208:209], 0   // 000000003CA4: D3D70084 0A03A100
	v_mfma_i32_16x16x32_i8 v[132:135], a[2:3], v[210:211], v[132:135]// 000000003CAC: D3D70084 0E13A502
	buffer_load_dwordx4 a[136:139], v36, s[24:27], 0 offen offset:2048// 000000003CB4: E05C1800 80868824
	v_mfma_i32_16x16x32_i8 v[132:135], a[4:5], v[212:213], v[132:135]// 000000003CBC: D3D70084 0E13A904
	v_mfma_i32_16x16x32_i8 v[132:135], a[6:7], v[214:215], v[132:135]// 000000003CC4: D3D70084 0E13AD06
	buffer_load_dword v30, s[20:23], 0 offen lds               // 000000003CCC: E0511000 8005001E
	buffer_load_dword v30, s[20:23], 0 offen offset:256 lds    // 000000003CD4: E0511100 8005001E
	s_add_u32 m0, 0x1860, s50                                  // 000000003CDC: 807C32FF 00001860
	v_mfma_i32_16x16x32_i8 v[132:135], a[8:9], v[216:217], v[132:135]// 000000003CE4: D3D70084 0E13B108
	v_mfma_i32_16x16x32_i8 v[132:135], a[10:11], v[218:219], v[132:135]// 000000003CEC: D3D70084 0E13B50A
	buffer_load_dwordx4 a[140:143], v36, s[24:27], 0 offen offset:3072// 000000003CF4: E05C1C00 80868C24
	v_mfma_i32_16x16x32_i8 v[132:135], a[12:13], v[220:221], v[132:135]// 000000003CFC: D3D70084 0E13B90C
	v_mfma_i32_16x16x32_i8 v[132:135], a[14:15], v[222:223], v[132:135]// 000000003D04: D3D70084 0E13BD0E
	buffer_load_dword v31, s[20:23], 0 offen lds               // 000000003D0C: E0511000 8005001F
	buffer_load_dword v31, s[20:23], 0 offen offset:256 lds    // 000000003D14: E0511100 8005001F
	s_add_u32 m0, 0x2080, s50                                  // 000000003D1C: 807C32FF 00002080
	s_waitcnt lgkmcnt(0)                                       // 000000003D24: BF8CC07F
	v_and_b32_e32 v243, 0xffff0000, v241                       // 000000003D28: 27E7E2FF FFFF0000
	v_lshlrev_b32_e32 v242, 16, v241                           // 000000003D30: 25E5E290
	v_and_b32_e32 v241, 0xffff0000, v240                       // 000000003D34: 27E3E0FF FFFF0000
	v_lshlrev_b32_e32 v240, 16, v240                           // 000000003D3C: 25E1E090
	v_and_b32_e32 v247, 0xffff0000, v245                       // 000000003D40: 27EFEAFF FFFF0000
	v_lshlrev_b32_e32 v246, 16, v245                           // 000000003D48: 25EDEA90
	v_and_b32_e32 v245, 0xffff0000, v244                       // 000000003D4C: 27EBE8FF FFFF0000
	v_lshlrev_b32_e32 v244, 16, v244                           // 000000003D54: 25E9E890
	v_and_b32_e32 v251, 0xffff0000, v249                       // 000000003D58: 27F7F2FF FFFF0000
	v_lshlrev_b32_e32 v250, 16, v249                           // 000000003D60: 25F5F290
	v_and_b32_e32 v249, 0xffff0000, v248                       // 000000003D64: 27F3F0FF FFFF0000
	v_lshlrev_b32_e32 v248, 16, v248                           // 000000003D6C: 25F1F090
	v_and_b32_e32 v255, 0xffff0000, v253                       // 000000003D70: 27FFFAFF FFFF0000
	v_lshlrev_b32_e32 v254, 16, v253                           // 000000003D78: 25FDFA90
	v_and_b32_e32 v253, 0xffff0000, v252                       // 000000003D7C: 27FBF8FF FFFF0000
	v_lshlrev_b32_e32 v252, 16, v252                           // 000000003D84: 25F9F890
	v_mul_f32_dpp v240, v15, v240 row_newbcast:8 row_mask:0xf bank_mask:0xf// 000000003D88: 0BE1E0FA FF01580F
	v_mul_f32_dpp v241, v15, v241 row_newbcast:9 row_mask:0xf bank_mask:0xf// 000000003D90: 0BE3E2FA FF01590F
	v_mul_f32_dpp v242, v15, v242 row_newbcast:10 row_mask:0xf bank_mask:0xf// 000000003D98: 0BE5E4FA FF015A0F
	v_mul_f32_dpp v243, v15, v243 row_newbcast:11 row_mask:0xf bank_mask:0xf// 000000003DA0: 0BE7E6FA FF015B0F
	v_mul_f32_dpp v244, v15, v244 row_newbcast:8 row_mask:0xf bank_mask:0xf// 000000003DA8: 0BE9E8FA FF01580F
	v_mul_f32_dpp v245, v15, v245 row_newbcast:9 row_mask:0xf bank_mask:0xf// 000000003DB0: 0BEBEAFA FF01590F
	v_mul_f32_dpp v246, v15, v246 row_newbcast:10 row_mask:0xf bank_mask:0xf// 000000003DB8: 0BEDECFA FF015A0F
	v_mul_f32_dpp v247, v15, v247 row_newbcast:11 row_mask:0xf bank_mask:0xf// 000000003DC0: 0BEFEEFA FF015B0F
	v_mul_f32_dpp v248, v15, v248 row_newbcast:12 row_mask:0xf bank_mask:0xf// 000000003DC8: 0BF1F0FA FF015C0F
	v_mul_f32_dpp v249, v15, v249 row_newbcast:13 row_mask:0xf bank_mask:0xf// 000000003DD0: 0BF3F2FA FF015D0F
	v_mul_f32_dpp v250, v15, v250 row_newbcast:14 row_mask:0xf bank_mask:0xf// 000000003DD8: 0BF5F4FA FF015E0F
	v_mul_f32_dpp v251, v15, v251 row_newbcast:15 row_mask:0xf bank_mask:0xf// 000000003DE0: 0BF7F6FA FF015F0F
	v_mul_f32_dpp v252, v15, v252 row_newbcast:12 row_mask:0xf bank_mask:0xf// 000000003DE8: 0BF9F8FA FF015C0F
	v_mul_f32_dpp v253, v15, v253 row_newbcast:13 row_mask:0xf bank_mask:0xf// 000000003DF0: 0BFBFAFA FF015D0F
	v_mul_f32_dpp v254, v15, v254 row_newbcast:14 row_mask:0xf bank_mask:0xf// 000000003DF8: 0BFDFCFA FF015E0F
	v_mul_f32_dpp v255, v15, v255 row_newbcast:15 row_mask:0xf bank_mask:0xf// 000000003E00: 0BFFFEFA FF015F0F
	v_mfma_i32_16x16x32_i8 v[136:139], a[16:17], v[192:193], 0 // 000000003E08: D3D70088 0A038110
	v_mfma_i32_16x16x32_i8 v[136:139], a[18:19], v[194:195], v[136:139]// 000000003E10: D3D70088 0E238512
	buffer_load_dwordx4 a[144:147], v37, s[24:27], 0 offen     // 000000003E18: E05C1000 80869025
	v_mfma_i32_16x16x32_i8 v[136:139], a[20:21], v[196:197], v[136:139]// 000000003E20: D3D70088 0E238914
	v_mfma_i32_16x16x32_i8 v[136:139], a[22:23], v[198:199], v[136:139]// 000000003E28: D3D70088 0E238D16
	buffer_load_dword v32, s[20:23], 0 offen lds               // 000000003E30: E0511000 80050020
	buffer_load_dword v32, s[20:23], 0 offen offset:256 lds    // 000000003E38: E0511100 80050020
	s_add_u32 m0, 0x28a0, s50                                  // 000000003E40: 807C32FF 000028A0
	v_mfma_i32_16x16x32_i8 v[136:139], a[24:25], v[200:201], v[136:139]// 000000003E48: D3D70088 0E239118
	v_mfma_i32_16x16x32_i8 v[136:139], a[26:27], v[202:203], v[136:139]// 000000003E50: D3D70088 0E23951A
	buffer_load_dwordx4 a[148:151], v37, s[24:27], 0 offen offset:1024// 000000003E58: E05C1400 80869425
	v_mfma_i32_16x16x32_i8 v[136:139], a[28:29], v[204:205], v[136:139]// 000000003E60: D3D70088 0E23991C
	v_mfma_i32_16x16x32_i8 v[136:139], a[30:31], v[206:207], v[136:139]// 000000003E68: D3D70088 0E239D1E
	buffer_load_dword v33, s[20:23], 0 offen lds               // 000000003E70: E0511000 80050021
	buffer_load_dword v33, s[20:23], 0 offen offset:256 lds    // 000000003E78: E0511100 80050021
	s_add_u32 m0, 0x30c0, s50                                  // 000000003E80: 807C32FF 000030C0
	v_mov_b32_e32 v48, 0x358637bd                              // 000000003E88: 7E6002FF 358637BD
	v_mov_b32_e32 v49, 0x358637bd                              // 000000003E90: 7E6202FF 358637BD
	v_max3_f32 v48, |v224|, |v225|, v48                        // 000000003E98: D1D30330 04C3C3E0
	v_max3_f32 v48, |v226|, |v227|, v48                        // 000000003EA0: D1D30330 04C3C7E2
	v_max3_f32 v49, |v228|, |v229|, v49                        // 000000003EA8: D1D30331 04C7CBE4
	v_max3_f32 v49, |v230|, |v231|, v49                        // 000000003EB0: D1D30331 04C7CFE6
	v_max3_f32 v48, |v232|, |v233|, v48                        // 000000003EB8: D1D30330 04C3D3E8
	v_max3_f32 v48, |v234|, |v235|, v48                        // 000000003EC0: D1D30330 04C3D7EA
	v_max3_f32 v49, |v236|, |v237|, v49                        // 000000003EC8: D1D30331 04C7DBEC
	v_max3_f32 v49, |v238|, |v239|, v49                        // 000000003ED0: D1D30331 04C7DFEE
	v_max3_f32 v48, |v240|, |v241|, v48                        // 000000003ED8: D1D30330 04C3E3F0
	v_max3_f32 v48, |v242|, |v243|, v48                        // 000000003EE0: D1D30330 04C3E7F2
	v_max3_f32 v49, |v244|, |v245|, v49                        // 000000003EE8: D1D30331 04C7EBF4
	v_max3_f32 v49, |v246|, |v247|, v49                        // 000000003EF0: D1D30331 04C7EFF6
	v_max3_f32 v48, |v248|, |v249|, v48                        // 000000003EF8: D1D30330 04C3F3F8
	v_max3_f32 v48, |v250|, |v251|, v48                        // 000000003F00: D1D30330 04C3F7FA
	v_max3_f32 v49, |v252|, |v253|, v49                        // 000000003F08: D1D30331 04C7FBFC
	v_max3_f32 v49, |v254|, |v255|, v49                        // 000000003F10: D1D30331 04C7FFFE
	v_mfma_i32_16x16x32_i8 v[140:143], a[16:17], v[208:209], 0 // 000000003F18: D3D7008C 0A03A110
	ds_write_b64 v3, v[48:49]                                  // 000000003F20: D89A0000 00003003
	v_mfma_i32_16x16x32_i8 v[140:143], a[18:19], v[210:211], v[140:143]// 000000003F28: D3D7008C 0E33A512
	buffer_load_dwordx4 a[152:155], v37, s[24:27], 0 offen offset:2048// 000000003F30: E05C1800 80869825
	v_mfma_i32_16x16x32_i8 v[140:143], a[20:21], v[212:213], v[140:143]// 000000003F38: D3D7008C 0E33A914
	v_mfma_i32_16x16x32_i8 v[140:143], a[22:23], v[214:215], v[140:143]// 000000003F40: D3D7008C 0E33AD16
	buffer_load_dword v34, s[20:23], 0 offen lds               // 000000003F48: E0511000 80050022
	buffer_load_dword v34, s[20:23], 0 offen offset:256 lds    // 000000003F50: E0511100 80050022
	s_add_u32 m0, 0x38e0, s50                                  // 000000003F58: 807C32FF 000038E0
	v_mfma_i32_16x16x32_i8 v[140:143], a[24:25], v[216:217], v[140:143]// 000000003F60: D3D7008C 0E33B118
	v_mfma_i32_16x16x32_i8 v[140:143], a[26:27], v[218:219], v[140:143]// 000000003F68: D3D7008C 0E33B51A
	buffer_load_dwordx4 a[156:159], v37, s[24:27], 0 offen offset:3072// 000000003F70: E05C1C00 80869C25
	v_mfma_i32_16x16x32_i8 v[140:143], a[28:29], v[220:221], v[140:143]// 000000003F78: D3D7008C 0E33B91C
	v_mfma_i32_16x16x32_i8 v[140:143], a[30:31], v[222:223], v[140:143]// 000000003F80: D3D7008C 0E33BD1E
	buffer_load_dword v35, s[20:23], 0 offen lds               // 000000003F88: E0511000 80050023
	buffer_load_dword v35, s[20:23], 0 offen offset:256 lds    // 000000003F90: E0511100 80050023
	s_add_u32 m0, 0, s51                                       // 000000003F98: 807C3380
	s_waitcnt lgkmcnt(0)                                       // 000000003F9C: BF8CC07F
	s_barrier                                                  // 000000003FA0: BF8A0000
	v_cvt_f32_i32_e32 v128, v128                               // 000000003FA4: 7F000B80
	v_cvt_f32_i32_e32 v129, v129                               // 000000003FA8: 7F020B81
	v_cvt_f32_i32_e32 v130, v130                               // 000000003FAC: 7F040B82
	v_cvt_f32_i32_e32 v131, v131                               // 000000003FB0: 7F060B83
	v_cvt_f32_i32_e32 v132, v132                               // 000000003FB4: 7F080B84
	v_cvt_f32_i32_e32 v133, v133                               // 000000003FB8: 7F0A0B85
	v_cvt_f32_i32_e32 v134, v134                               // 000000003FBC: 7F0C0B86
	v_cvt_f32_i32_e32 v135, v135                               // 000000003FC0: 7F0E0B87
	v_cvt_f32_i32_e32 v136, v136                               // 000000003FC4: 7F100B88
	v_cvt_f32_i32_e32 v137, v137                               // 000000003FC8: 7F120B89
	v_cvt_f32_i32_e32 v138, v138                               // 000000003FCC: 7F140B8A
	v_cvt_f32_i32_e32 v139, v139                               // 000000003FD0: 7F160B8B
	v_cvt_f32_i32_e32 v140, v140                               // 000000003FD4: 7F180B8C
	v_cvt_f32_i32_e32 v141, v141                               // 000000003FD8: 7F1A0B8D
	v_cvt_f32_i32_e32 v142, v142                               // 000000003FDC: 7F1C0B8E
	v_cvt_f32_i32_e32 v143, v143                               // 000000003FE0: 7F1E0B8F
	s_waitcnt vmcnt(40)                                        // 000000003FE4: BF8C8F78
	v_mfma_i32_16x16x32_i8 v[144:147], a[32:33], v[192:193], 0 // 000000003FE8: D3D70090 0A038120
	ds_read_b64 v[48:49], v4                                   // 000000003FF0: D8EC0000 30000004
	ds_read_b64 v[50:51], v4 offset:128                        // 000000003FF8: D8EC0080 32000004
	v_mfma_i32_16x16x32_i8 v[144:147], a[34:35], v[194:195], v[144:147]// 000000004000: D3D70090 0E438522
	buffer_load_dwordx4 a[160:163], v38, s[24:27], 0 offen     // 000000004008: E05C1000 8086A026
	v_mfma_i32_16x16x32_i8 v[144:147], a[36:37], v[196:197], v[144:147]// 000000004010: D3D70090 0E438924
	ds_read_b64 v[52:53], v4 offset:256                        // 000000004018: D8EC0100 34000004
	ds_read_b64 v[54:55], v4 offset:384                        // 000000004020: D8EC0180 36000004
	v_mfma_i32_16x16x32_i8 v[144:147], a[38:39], v[198:199], v[144:147]// 000000004028: D3D70090 0E438D26
	v_mfma_i32_16x16x32_i8 v[144:147], a[40:41], v[200:201], v[144:147]// 000000004030: D3D70090 0E439128
	ds_read_b64 v[56:57], v4 offset:512                        // 000000004038: D8EC0200 38000004
	ds_read_b64 v[58:59], v4 offset:640                        // 000000004040: D8EC0280 3A000004
	v_mfma_i32_16x16x32_i8 v[144:147], a[42:43], v[202:203], v[144:147]// 000000004048: D3D70090 0E43952A
	buffer_load_dwordx4 a[164:167], v38, s[24:27], 0 offen offset:1024// 000000004050: E05C1400 8086A426
	v_mfma_i32_16x16x32_i8 v[144:147], a[44:45], v[204:205], v[144:147]// 000000004058: D3D70090 0E43992C
	ds_read_b64 v[60:61], v4 offset:768                        // 000000004060: D8EC0300 3C000004
	ds_read_b64 v[62:63], v4 offset:896                        // 000000004068: D8EC0380 3E000004
	v_mfma_i32_16x16x32_i8 v[144:147], a[46:47], v[206:207], v[144:147]// 000000004070: D3D70090 0E439D2E
	v_mov_b32_e32 v8, v25                                      // 000000004078: 7E100319
	v_mov_b32_e32 v9, v25                                      // 00000000407C: 7E120319
	v_mov_b32_e32 v25, v24                                     // 000000004080: 7E320318
	v_pk_fma_f32 v[64:65], v[24:25], v[128:129], v[64:65]      // 000000004084: D3B04040 1D030118
	v_pk_fma_f32 v[66:67], v[24:25], v[130:131], v[66:67]      // 00000000408C: D3B04042 1D0B0518
	v_pk_fma_f32 v[68:69], v[8:9], v[132:133], v[68:69]        // 000000004094: D3B04044 1D130908
	v_pk_fma_f32 v[70:71], v[8:9], v[134:135], v[70:71]        // 00000000409C: D3B04046 1D1B0D08
	v_pk_fma_f32 v[72:73], v[24:25], v[136:137], v[72:73]      // 0000000040A4: D3B04048 1D231118
	v_pk_fma_f32 v[74:75], v[24:25], v[138:139], v[74:75]      // 0000000040AC: D3B0404A 1D2B1518
	v_pk_fma_f32 v[76:77], v[8:9], v[140:141], v[76:77]        // 0000000040B4: D3B0404C 1D331908
	v_pk_fma_f32 v[78:79], v[8:9], v[142:143], v[78:79]        // 0000000040BC: D3B0404E 1D3B1D08
	s_waitcnt lgkmcnt(0)                                       // 0000000040C4: BF8CC07F
	v_mov_b32_e32 v22, 0x358637bd                              // 0000000040C8: 7E2C02FF 358637BD
	v_mov_b32_e32 v23, 0x358637bd                              // 0000000040D0: 7E2E02FF 358637BD
	v_max3_f32 v22, |v48|, |v50|, v22                          // 0000000040D8: D1D30316 045A6530
	v_max3_f32 v23, |v49|, |v51|, v23                          // 0000000040E0: D1D30317 045E6731
	v_max3_f32 v22, |v52|, |v54|, v22                          // 0000000040E8: D1D30316 045A6D34
	v_max3_f32 v23, |v53|, |v55|, v23                          // 0000000040F0: D1D30317 045E6F35
	v_max3_f32 v22, |v56|, |v58|, v22                          // 0000000040F8: D1D30316 045A7538
	v_max3_f32 v23, |v57|, |v59|, v23                          // 000000004100: D1D30317 045E7739
	v_max3_f32 v22, |v60|, |v62|, v22                          // 000000004108: D1D30316 045A7D3C
	v_max3_f32 v23, |v61|, |v63|, v23                          // 000000004110: D1D30317 045E7F3D
	v_mfma_i32_16x16x32_i8 v[148:151], a[32:33], v[208:209], 0 // 000000004118: D3D70094 0A03A120
	ds_read_b64 v[48:49], v4 offset:1024                       // 000000004120: D8EC0400 30000004
	ds_read_b64 v[50:51], v4 offset:1152                       // 000000004128: D8EC0480 32000004
	v_mfma_i32_16x16x32_i8 v[148:151], a[34:35], v[210:211], v[148:151]// 000000004130: D3D70094 0E53A522
	buffer_load_dwordx4 a[168:171], v38, s[24:27], 0 offen offset:2048// 000000004138: E05C1800 8086A826
	v_mfma_i32_16x16x32_i8 v[148:151], a[36:37], v[212:213], v[148:151]// 000000004140: D3D70094 0E53A924
	ds_read_b64 v[52:53], v4 offset:1280                       // 000000004148: D8EC0500 34000004
	ds_read_b64 v[54:55], v4 offset:1408                       // 000000004150: D8EC0580 36000004
	v_mfma_i32_16x16x32_i8 v[148:151], a[38:39], v[214:215], v[148:151]// 000000004158: D3D70094 0E53AD26
	v_mfma_i32_16x16x32_i8 v[148:151], a[40:41], v[216:217], v[148:151]// 000000004160: D3D70094 0E53B128
	ds_read_b64 v[56:57], v4 offset:1536                       // 000000004168: D8EC0600 38000004
	ds_read_b64 v[58:59], v4 offset:1664                       // 000000004170: D8EC0680 3A000004
	v_mfma_i32_16x16x32_i8 v[148:151], a[42:43], v[218:219], v[148:151]// 000000004178: D3D70094 0E53B52A
	buffer_load_dwordx4 a[172:175], v38, s[24:27], 0 offen offset:3072// 000000004180: E05C1C00 8086AC26
	v_mfma_i32_16x16x32_i8 v[148:151], a[44:45], v[220:221], v[148:151]// 000000004188: D3D70094 0E53B92C
	ds_read_b64 v[60:61], v4 offset:1792                       // 000000004190: D8EC0700 3C000004
	ds_read_b64 v[62:63], v4 offset:1920                       // 000000004198: D8EC0780 3E000004
	v_mfma_i32_16x16x32_i8 v[148:151], a[46:47], v[222:223], v[148:151]// 0000000041A0: D3D70094 0E53BD2E
	v_mfma_i32_16x16x32_i8 v[152:155], a[48:49], v[192:193], 0 // 0000000041A8: D3D70098 0A038130
	v_mfma_i32_16x16x32_i8 v[152:155], a[50:51], v[194:195], v[152:155]// 0000000041B0: D3D70098 0E638532
	buffer_load_dwordx4 a[176:179], v39, s[24:27], 0 offen     // 0000000041B8: E05C1000 8086B027
	v_mfma_i32_16x16x32_i8 v[152:155], a[52:53], v[196:197], v[152:155]// 0000000041C0: D3D70098 0E638934
	v_mfma_i32_16x16x32_i8 v[152:155], a[54:55], v[198:199], v[152:155]// 0000000041C8: D3D70098 0E638D36
	v_mfma_i32_16x16x32_i8 v[152:155], a[56:57], v[200:201], v[152:155]// 0000000041D0: D3D70098 0E639138
	v_mfma_i32_16x16x32_i8 v[152:155], a[58:59], v[202:203], v[152:155]// 0000000041D8: D3D70098 0E63953A
	buffer_load_dwordx4 a[180:183], v39, s[24:27], 0 offen offset:1024// 0000000041E0: E05C1400 8086B427
	v_mfma_i32_16x16x32_i8 v[152:155], a[60:61], v[204:205], v[152:155]// 0000000041E8: D3D70098 0E63993C
	v_mfma_i32_16x16x32_i8 v[152:155], a[62:63], v[206:207], v[152:155]// 0000000041F0: D3D70098 0E639D3E
	s_waitcnt lgkmcnt(0)                                       // 0000000041F8: BF8CC07F
	v_max3_f32 v22, |v48|, |v50|, v22                          // 0000000041FC: D1D30316 045A6530
	v_max3_f32 v23, |v49|, |v51|, v23                          // 000000004204: D1D30317 045E6731
	v_max3_f32 v22, |v52|, |v54|, v22                          // 00000000420C: D1D30316 045A6D34
	v_max3_f32 v23, |v53|, |v55|, v23                          // 000000004214: D1D30317 045E6F35
	v_max3_f32 v22, |v56|, |v58|, v22                          // 00000000421C: D1D30316 045A7538
	v_max3_f32 v23, |v57|, |v59|, v23                          // 000000004224: D1D30317 045E7739
	v_max3_f32 v22, |v60|, |v62|, v22                          // 00000000422C: D1D30316 045A7D3C
	v_max3_f32 v23, |v61|, |v63|, v23                          // 000000004234: D1D30317 045E7F3D
	v_rcp_f32_e32 v22, v22                                     // 00000000423C: 7E2C4516
	v_rcp_f32_e32 v23, v23                                     // 000000004240: 7E2E4517
	s_nop 1                                                    // 000000004244: BF800001
	v_mul_f32_e32 v22, 0x42fe0000, v22                         // 000000004248: 0A2C2CFF 42FE0000
	v_mul_f32_e32 v23, 0x42fe0000, v23                         // 000000004250: 0A2E2EFF 42FE0000
	v_rcp_f32_e32 v26, v22                                     // 000000004258: 7E344516
	v_rcp_f32_e32 v27, v23                                     // 00000000425C: 7E364517
	v_mfma_i32_16x16x32_i8 v[156:159], a[48:49], v[208:209], 0 // 000000004260: D3D7009C 0A03A130
	v_mfma_i32_16x16x32_i8 v[156:159], a[50:51], v[210:211], v[156:159]// 000000004268: D3D7009C 0E73A532
	buffer_load_dwordx4 a[184:187], v39, s[24:27], 0 offen offset:2048// 000000004270: E05C1800 8086B827
	v_mfma_i32_16x16x32_i8 v[156:159], a[52:53], v[212:213], v[156:159]// 000000004278: D3D7009C 0E73A934
	v_mfma_i32_16x16x32_i8 v[156:159], a[54:55], v[214:215], v[156:159]// 000000004280: D3D7009C 0E73AD36
	v_mfma_i32_16x16x32_i8 v[156:159], a[56:57], v[216:217], v[156:159]// 000000004288: D3D7009C 0E73B138
	v_mfma_i32_16x16x32_i8 v[156:159], a[58:59], v[218:219], v[156:159]// 000000004290: D3D7009C 0E73B53A
	buffer_load_dwordx4 a[188:191], v39, s[24:27], 0 offen offset:3072// 000000004298: E05C1C00 8086BC27
	v_mfma_i32_16x16x32_i8 v[156:159], a[60:61], v[220:221], v[156:159]// 0000000042A0: D3D7009C 0E73B93C
	v_mfma_i32_16x16x32_i8 v[156:159], a[62:63], v[222:223], v[156:159]// 0000000042A8: D3D7009C 0E73BD3E
	v_mul_f32_e32 v224, v22, v224                              // 0000000042B0: 0BC1C116
	v_mul_f32_e32 v225, v22, v225                              // 0000000042B4: 0BC3C316
	v_mul_f32_e32 v226, v22, v226                              // 0000000042B8: 0BC5C516
	v_mul_f32_e32 v227, v22, v227                              // 0000000042BC: 0BC7C716
	v_cvt_i32_f32_e32 v224, v224                               // 0000000042C0: 7FC011E0
	v_cvt_i32_f32_e32 v225, v225                               // 0000000042C4: 7FC211E1
	v_cvt_i32_f32_e32 v226, v226                               // 0000000042C8: 7FC411E2
	v_cvt_i32_f32_e32 v227, v227                               // 0000000042CC: 7FC611E3
	v_perm_b32 v224, v225, v224, s53                           // 0000000042D0: D1ED00E0 00D7C1E1
	v_perm_b32 v224, v226, v224, s54                           // 0000000042D8: D1ED00E0 00DBC1E2
	v_perm_b32 v224, v227, v224, s55                           // 0000000042E0: D1ED00E0 00DFC1E3
	v_mul_f32_e32 v228, v23, v228                              // 0000000042E8: 0BC9C917
	v_mul_f32_e32 v229, v23, v229                              // 0000000042EC: 0BCBCB17
	v_mul_f32_e32 v230, v23, v230                              // 0000000042F0: 0BCDCD17
	v_mul_f32_e32 v231, v23, v231                              // 0000000042F4: 0BCFCF17
	v_cvt_i32_f32_e32 v228, v228                               // 0000000042F8: 7FC811E4
	v_cvt_i32_f32_e32 v229, v229                               // 0000000042FC: 7FCA11E5
	v_cvt_i32_f32_e32 v230, v230                               // 000000004300: 7FCC11E6
	v_cvt_i32_f32_e32 v231, v231                               // 000000004304: 7FCE11E7
	v_perm_b32 v225, v229, v228, s53                           // 000000004308: D1ED00E1 00D7C9E5
	v_perm_b32 v225, v230, v225, s54                           // 000000004310: D1ED00E1 00DBC3E6
	v_perm_b32 v225, v231, v225, s55                           // 000000004318: D1ED00E1 00DFC3E7
	s_waitcnt vmcnt(40)                                        // 000000004320: BF8C8F78
	v_mfma_i32_16x16x32_i8 v[160:163], a[64:65], v[192:193], 0 // 000000004324: D3D700A0 0A038140
	v_mfma_i32_16x16x32_i8 v[160:163], a[66:67], v[194:195], v[160:163]// 00000000432C: D3D700A0 0E838542
	buffer_load_dwordx4 a[192:195], v40, s[24:27], 0 offen     // 000000004334: E05C1000 8086C028
	v_mfma_i32_16x16x32_i8 v[160:163], a[68:69], v[196:197], v[160:163]// 00000000433C: D3D700A0 0E838944
	v_mfma_i32_16x16x32_i8 v[160:163], a[70:71], v[198:199], v[160:163]// 000000004344: D3D700A0 0E838D46
	s_add_u32 s60, 0x300, s80                                  // 00000000434C: 803C50FF 00000300
	s_cmp_lt_u32 s60, s81                                      // 000000004354: BF0A513C
	s_cselect_b32 s57, s57, 0                                  // 000000004358: 85398039
	s_cselect_b32 s84, s84, 0                                  // 00000000435C: 85548054
	v_mfma_i32_16x16x32_i8 v[160:163], a[72:73], v[200:201], v[160:163]// 000000004360: D3D700A0 0E839148
	v_mfma_i32_16x16x32_i8 v[160:163], a[74:75], v[202:203], v[160:163]// 000000004368: D3D700A0 0E83954A
	buffer_load_dwordx4 a[196:199], v40, s[24:27], 0 offen offset:1024// 000000004370: E05C1400 8086C428
	v_mfma_i32_16x16x32_i8 v[160:163], a[76:77], v[204:205], v[160:163]// 000000004378: D3D700A0 0E83994C
	v_mfma_i32_16x16x32_i8 v[160:163], a[78:79], v[206:207], v[160:163]// 000000004380: D3D700A0 0E839D4E
	s_add_u32 s60, 0x200, s80                                  // 000000004388: 803C50FF 00000200
	s_cmp_lt_u32 s60, s81                                      // 000000004390: BF0A513C
	s_cselect_b32 s58, s58, 0                                  // 000000004394: 853A803A
	v_mul_f32_e32 v232, v22, v232                              // 000000004398: 0BD1D116
	v_mul_f32_e32 v233, v22, v233                              // 00000000439C: 0BD3D316
	v_mul_f32_e32 v234, v22, v234                              // 0000000043A0: 0BD5D516
	v_mul_f32_e32 v235, v22, v235                              // 0000000043A4: 0BD7D716
	v_cvt_i32_f32_e32 v232, v232                               // 0000000043A8: 7FD011E8
	v_cvt_i32_f32_e32 v233, v233                               // 0000000043AC: 7FD211E9
	v_cvt_i32_f32_e32 v234, v234                               // 0000000043B0: 7FD411EA
	v_cvt_i32_f32_e32 v235, v235                               // 0000000043B4: 7FD611EB
	v_perm_b32 v226, v233, v232, s53                           // 0000000043B8: D1ED00E2 00D7D1E9
	v_perm_b32 v226, v234, v226, s54                           // 0000000043C0: D1ED00E2 00DBC5EA
	v_perm_b32 v226, v235, v226, s55                           // 0000000043C8: D1ED00E2 00DFC5EB
	v_mul_f32_e32 v236, v23, v236                              // 0000000043D0: 0BD9D917
	v_mul_f32_e32 v237, v23, v237                              // 0000000043D4: 0BDBDB17
	v_mul_f32_e32 v238, v23, v238                              // 0000000043D8: 0BDDDD17
	v_mul_f32_e32 v239, v23, v239                              // 0000000043DC: 0BDFDF17
	v_cvt_i32_f32_e32 v236, v236                               // 0000000043E0: 7FD811EC
	v_cvt_i32_f32_e32 v237, v237                               // 0000000043E4: 7FDA11ED
	v_cvt_i32_f32_e32 v238, v238                               // 0000000043E8: 7FDC11EE
	v_cvt_i32_f32_e32 v239, v239                               // 0000000043EC: 7FDE11EF
	v_perm_b32 v227, v237, v236, s53                           // 0000000043F0: D1ED00E3 00D7D9ED
	v_perm_b32 v227, v238, v227, s54                           // 0000000043F8: D1ED00E3 00DBC7EE
	v_perm_b32 v227, v239, v227, s55                           // 000000004400: D1ED00E3 00DFC7EF
	v_mfma_i32_16x16x32_i8 v[164:167], a[64:65], v[208:209], 0 // 000000004408: D3D700A4 0A03A140
	ds_write_b32 v12, v224 offset:2048                         // 000000004410: D81A0800 0000E00C
	v_mfma_i32_16x16x32_i8 v[164:167], a[66:67], v[210:211], v[164:167]// 000000004418: D3D700A4 0E93A542
	buffer_load_dwordx4 a[200:203], v40, s[24:27], 0 offen offset:2048// 000000004420: E05C1800 8086C828
	v_mfma_i32_16x16x32_i8 v[164:167], a[68:69], v[212:213], v[164:167]// 000000004428: D3D700A4 0E93A944
	ds_write_b32 v12, v225 offset:6144                         // 000000004430: D81A1800 0000E10C
	v_mfma_i32_16x16x32_i8 v[164:167], a[70:71], v[214:215], v[164:167]// 000000004438: D3D700A4 0E93AD46
	s_add_u32 s20, s57, s20                                    // 000000004440: 80141439
	s_addc_u32 s21, 0, s21                                     // 000000004444: 82151580
	v_mfma_i32_16x16x32_i8 v[164:167], a[72:73], v[216:217], v[164:167]// 000000004448: D3D700A4 0E93B148
	ds_write_b32 v12, v226 offset:3072                         // 000000004450: D81A0C00 0000E20C
	v_mfma_i32_16x16x32_i8 v[164:167], a[74:75], v[218:219], v[164:167]// 000000004458: D3D700A4 0E93B54A
	buffer_load_dwordx4 a[204:207], v40, s[24:27], 0 offen offset:3072// 000000004460: E05C1C00 8086CC28
	v_mfma_i32_16x16x32_i8 v[164:167], a[76:77], v[220:221], v[164:167]// 000000004468: D3D700A4 0E93B94C
	ds_write_b32 v12, v227 offset:7168                         // 000000004470: D81A1C00 0000E30C
	v_mfma_i32_16x16x32_i8 v[164:167], a[78:79], v[222:223], v[164:167]// 000000004478: D3D700A4 0E93BD4E
	v_mul_f32_e32 v240, v22, v240                              // 000000004480: 0BE1E116
	v_mul_f32_e32 v241, v22, v241                              // 000000004484: 0BE3E316
	v_mul_f32_e32 v242, v22, v242                              // 000000004488: 0BE5E516
	v_mul_f32_e32 v243, v22, v243                              // 00000000448C: 0BE7E716
	v_cvt_i32_f32_e32 v240, v240                               // 000000004490: 7FE011F0
	v_cvt_i32_f32_e32 v241, v241                               // 000000004494: 7FE211F1
	v_cvt_i32_f32_e32 v242, v242                               // 000000004498: 7FE411F2
	v_cvt_i32_f32_e32 v243, v243                               // 00000000449C: 7FE611F3
	v_perm_b32 v228, v241, v240, s53                           // 0000000044A0: D1ED00E4 00D7E1F1
	v_perm_b32 v228, v242, v228, s54                           // 0000000044A8: D1ED00E4 00DBC9F2
	v_perm_b32 v228, v243, v228, s55                           // 0000000044B0: D1ED00E4 00DFC9F3
	v_mul_f32_e32 v244, v23, v244                              // 0000000044B8: 0BE9E917
	v_mul_f32_e32 v245, v23, v245                              // 0000000044BC: 0BEBEB17
	v_mul_f32_e32 v246, v23, v246                              // 0000000044C0: 0BEDED17
	v_mul_f32_e32 v247, v23, v247                              // 0000000044C4: 0BEFEF17
	v_cvt_i32_f32_e32 v244, v244                               // 0000000044C8: 7FE811F4
	v_cvt_i32_f32_e32 v245, v245                               // 0000000044CC: 7FEA11F5
	v_cvt_i32_f32_e32 v246, v246                               // 0000000044D0: 7FEC11F6
	v_cvt_i32_f32_e32 v247, v247                               // 0000000044D4: 7FEE11F7
	v_perm_b32 v229, v245, v244, s53                           // 0000000044D8: D1ED00E5 00D7E9F5
	v_perm_b32 v229, v246, v229, s54                           // 0000000044E0: D1ED00E5 00DBCBF6
	v_perm_b32 v229, v247, v229, s55                           // 0000000044E8: D1ED00E5 00DFCBF7
	v_mfma_i32_16x16x32_i8 v[168:171], a[80:81], v[192:193], 0 // 0000000044F0: D3D700A8 0A038150
	v_mfma_i32_16x16x32_i8 v[168:171], a[82:83], v[194:195], v[168:171]// 0000000044F8: D3D700A8 0EA38552
	buffer_load_dwordx4 a[208:211], v41, s[24:27], 0 offen     // 000000004500: E05C1000 8086D029
	v_mfma_i32_16x16x32_i8 v[168:171], a[84:85], v[196:197], v[168:171]// 000000004508: D3D700A8 0EA38954
	v_mfma_i32_16x16x32_i8 v[168:171], a[86:87], v[198:199], v[168:171]// 000000004510: D3D700A8 0EA38D56
	v_mfma_i32_16x16x32_i8 v[168:171], a[88:89], v[200:201], v[168:171]// 000000004518: D3D700A8 0EA39158
	v_mfma_i32_16x16x32_i8 v[168:171], a[90:91], v[202:203], v[168:171]// 000000004520: D3D700A8 0EA3955A
	buffer_load_dwordx4 a[212:215], v41, s[24:27], 0 offen offset:1024// 000000004528: E05C1400 8086D429
	v_mfma_i32_16x16x32_i8 v[168:171], a[92:93], v[204:205], v[168:171]// 000000004530: D3D700A8 0EA3995C
	v_mfma_i32_16x16x32_i8 v[168:171], a[94:95], v[206:207], v[168:171]// 000000004538: D3D700A8 0EA39D5E
	v_mul_f32_e32 v248, v22, v248                              // 000000004540: 0BF1F116
	v_mul_f32_e32 v249, v22, v249                              // 000000004544: 0BF3F316
	v_mul_f32_e32 v250, v22, v250                              // 000000004548: 0BF5F516
	v_mul_f32_e32 v251, v22, v251                              // 00000000454C: 0BF7F716
	v_cvt_i32_f32_e32 v248, v248                               // 000000004550: 7FF011F8
	v_cvt_i32_f32_e32 v249, v249                               // 000000004554: 7FF211F9
	v_cvt_i32_f32_e32 v250, v250                               // 000000004558: 7FF411FA
	v_cvt_i32_f32_e32 v251, v251                               // 00000000455C: 7FF611FB
	v_perm_b32 v230, v249, v248, s53                           // 000000004560: D1ED00E6 00D7F1F9
	v_perm_b32 v230, v250, v230, s54                           // 000000004568: D1ED00E6 00DBCDFA
	v_perm_b32 v230, v251, v230, s55                           // 000000004570: D1ED00E6 00DFCDFB
	v_mul_f32_e32 v252, v23, v252                              // 000000004578: 0BF9F917
	v_mul_f32_e32 v253, v23, v253                              // 00000000457C: 0BFBFB17
	v_mul_f32_e32 v254, v23, v254                              // 000000004580: 0BFDFD17
	v_mul_f32_e32 v255, v23, v255                              // 000000004584: 0BFFFF17
	v_cvt_i32_f32_e32 v252, v252                               // 000000004588: 7FF811FC
	v_cvt_i32_f32_e32 v253, v253                               // 00000000458C: 7FFA11FD
	v_cvt_i32_f32_e32 v254, v254                               // 000000004590: 7FFC11FE
	v_cvt_i32_f32_e32 v255, v255                               // 000000004594: 7FFE11FF
	v_perm_b32 v231, v253, v252, s53                           // 000000004598: D1ED00E7 00D7F9FD
	v_perm_b32 v231, v254, v231, s54                           // 0000000045A0: D1ED00E7 00DBCFFE
	v_perm_b32 v231, v255, v231, s55                           // 0000000045A8: D1ED00E7 00DFCFFF
	v_mfma_i32_16x16x32_i8 v[172:175], a[80:81], v[208:209], 0 // 0000000045B0: D3D700AC 0A03A150
	ds_write_b32 v12, v228 offset:4096                         // 0000000045B8: D81A1000 0000E40C
	v_mfma_i32_16x16x32_i8 v[172:175], a[82:83], v[210:211], v[172:175]// 0000000045C0: D3D700AC 0EB3A552
	buffer_load_dwordx4 a[216:219], v41, s[24:27], 0 offen offset:2048// 0000000045C8: E05C1800 8086D829
	v_mfma_i32_16x16x32_i8 v[172:175], a[84:85], v[212:213], v[172:175]// 0000000045D0: D3D700AC 0EB3A954
	ds_write_b32 v12, v229 offset:8192                         // 0000000045D8: D81A2000 0000E50C
	v_mfma_i32_16x16x32_i8 v[172:175], a[86:87], v[214:215], v[172:175]// 0000000045E0: D3D700AC 0EB3AD56
	v_mfma_i32_16x16x32_i8 v[172:175], a[88:89], v[216:217], v[172:175]// 0000000045E8: D3D700AC 0EB3B158
	ds_write_b32 v12, v230 offset:5120                         // 0000000045F0: D81A1400 0000E60C
	v_mfma_i32_16x16x32_i8 v[172:175], a[90:91], v[218:219], v[172:175]// 0000000045F8: D3D700AC 0EB3B55A
	buffer_load_dwordx4 a[220:223], v41, s[24:27], 0 offen offset:3072// 000000004600: E05C1C00 8086DC29
	v_mfma_i32_16x16x32_i8 v[172:175], a[92:93], v[220:221], v[172:175]// 000000004608: D3D700AC 0EB3B95C
	ds_write_b32 v12, v231 offset:9216                         // 000000004610: D81A2400 0000E70C
	v_mfma_i32_16x16x32_i8 v[172:175], a[94:95], v[222:223], v[172:175]// 000000004618: D3D700AC 0EB3BD5E
	v_cvt_f32_i32_e32 v144, v144                               // 000000004620: 7F200B90
	v_cvt_f32_i32_e32 v145, v145                               // 000000004624: 7F220B91
	v_cvt_f32_i32_e32 v146, v146                               // 000000004628: 7F240B92
	v_cvt_f32_i32_e32 v147, v147                               // 00000000462C: 7F260B93
	v_cvt_f32_i32_e32 v148, v148                               // 000000004630: 7F280B94
	v_cvt_f32_i32_e32 v149, v149                               // 000000004634: 7F2A0B95
	v_cvt_f32_i32_e32 v150, v150                               // 000000004638: 7F2C0B96
	v_cvt_f32_i32_e32 v151, v151                               // 00000000463C: 7F2E0B97
	v_cvt_f32_i32_e32 v152, v152                               // 000000004640: 7F300B98
	v_cvt_f32_i32_e32 v153, v153                               // 000000004644: 7F320B99
	v_cvt_f32_i32_e32 v154, v154                               // 000000004648: 7F340B9A
	v_cvt_f32_i32_e32 v155, v155                               // 00000000464C: 7F360B9B
	v_cvt_f32_i32_e32 v156, v156                               // 000000004650: 7F380B9C
	v_cvt_f32_i32_e32 v157, v157                               // 000000004654: 7F3A0B9D
	v_cvt_f32_i32_e32 v158, v158                               // 000000004658: 7F3C0B9E
	v_cvt_f32_i32_e32 v159, v159                               // 00000000465C: 7F3E0B9F
	s_waitcnt lgkmcnt(0)                                       // 000000004660: BF8CC07F
	s_barrier                                                  // 000000004664: BF8A0000
	s_waitcnt vmcnt(40)                                        // 000000004668: BF8C8F78
	v_mfma_i32_16x16x32_i8 v[176:179], a[96:97], v[192:193], 0 // 00000000466C: D3D700B0 0A038160
	ds_read_b64 v[224:225], v13 offset:2048                    // 000000004674: D8EC0800 E000000D
	ds_read_b64 v[226:227], v13 offset:2176                    // 00000000467C: D8EC0880 E200000D
	v_mfma_i32_16x16x32_i8 v[176:179], a[98:99], v[194:195], v[176:179]// 000000004684: D3D700B0 0EC38562
	buffer_load_dwordx4 a[224:227], v42, s[24:27], 0 offen     // 00000000468C: E05C1000 8086E02A
	v_mfma_i32_16x16x32_i8 v[176:179], a[100:101], v[196:197], v[176:179]// 000000004694: D3D700B0 0EC38964
	ds_read_b64 v[228:229], v13 offset:3072                    // 00000000469C: D8EC0C00 E400000D
	ds_read_b64 v[230:231], v13 offset:3200                    // 0000000046A4: D8EC0C80 E600000D
	v_mfma_i32_16x16x32_i8 v[176:179], a[102:103], v[198:199], v[176:179]// 0000000046AC: D3D700B0 0EC38D66
	v_mfma_i32_16x16x32_i8 v[176:179], a[104:105], v[200:201], v[176:179]// 0000000046B4: D3D700B0 0EC39168
	ds_read_b64 v[232:233], v13 offset:4096                    // 0000000046BC: D8EC1000 E800000D
	ds_read_b64 v[234:235], v13 offset:4224                    // 0000000046C4: D8EC1080 EA00000D
	v_mfma_i32_16x16x32_i8 v[176:179], a[106:107], v[202:203], v[176:179]// 0000000046CC: D3D700B0 0EC3956A
	buffer_load_dwordx4 a[228:231], v42, s[24:27], 0 offen offset:1024// 0000000046D4: E05C1400 8086E42A
	v_mfma_i32_16x16x32_i8 v[176:179], a[108:109], v[204:205], v[176:179]// 0000000046DC: D3D700B0 0EC3996C
	ds_read_b64 v[236:237], v13 offset:5120                    // 0000000046E4: D8EC1400 EC00000D
	ds_read_b64 v[238:239], v13 offset:5248                    // 0000000046EC: D8EC1480 EE00000D
	v_mfma_i32_16x16x32_i8 v[176:179], a[110:111], v[206:207], v[176:179]// 0000000046F4: D3D700B0 0EC39D6E
	v_cvt_f32_i32_e32 v160, v160                               // 0000000046FC: 7F400BA0
	v_cvt_f32_i32_e32 v161, v161                               // 000000004700: 7F420BA1
	v_cvt_f32_i32_e32 v162, v162                               // 000000004704: 7F440BA2
	v_cvt_f32_i32_e32 v163, v163                               // 000000004708: 7F460BA3
	v_cvt_f32_i32_e32 v164, v164                               // 00000000470C: 7F480BA4
	v_cvt_f32_i32_e32 v165, v165                               // 000000004710: 7F4A0BA5
	v_cvt_f32_i32_e32 v166, v166                               // 000000004714: 7F4C0BA6
	v_cvt_f32_i32_e32 v167, v167                               // 000000004718: 7F4E0BA7
	v_pk_fma_f32 v[80:81], v[24:25], v[144:145], v[80:81]      // 00000000471C: D3B04050 1D432118
	v_pk_fma_f32 v[82:83], v[24:25], v[146:147], v[82:83]      // 000000004724: D3B04052 1D4B2518
	v_pk_fma_f32 v[84:85], v[8:9], v[148:149], v[84:85]        // 00000000472C: D3B04054 1D532908
	v_pk_fma_f32 v[86:87], v[8:9], v[150:151], v[86:87]        // 000000004734: D3B04056 1D5B2D08
	v_pk_fma_f32 v[88:89], v[24:25], v[152:153], v[88:89]      // 00000000473C: D3B04058 1D633118
	v_pk_fma_f32 v[90:91], v[24:25], v[154:155], v[90:91]      // 000000004744: D3B0405A 1D6B3518
	v_pk_fma_f32 v[92:93], v[8:9], v[156:157], v[92:93]        // 00000000474C: D3B0405C 1D733908
	v_pk_fma_f32 v[94:95], v[8:9], v[158:159], v[94:95]        // 000000004754: D3B0405E 1D7B3D08
	v_mfma_i32_16x16x32_i8 v[180:183], a[96:97], v[208:209], 0 // 00000000475C: D3D700B4 0A03A160
	ds_read_b64 v[240:241], v13 offset:6144                    // 000000004764: D8EC1800 F000000D
	ds_read_b64 v[242:243], v13 offset:6272                    // 00000000476C: D8EC1880 F200000D
	v_mfma_i32_16x16x32_i8 v[180:183], a[98:99], v[210:211], v[180:183]// 000000004774: D3D700B4 0ED3A562
	buffer_load_dwordx4 a[232:235], v42, s[24:27], 0 offen offset:2048// 00000000477C: E05C1800 8086E82A
	v_mfma_i32_16x16x32_i8 v[180:183], a[100:101], v[212:213], v[180:183]// 000000004784: D3D700B4 0ED3A964
	ds_read_b64 v[244:245], v13 offset:7168                    // 00000000478C: D8EC1C00 F400000D
	ds_read_b64 v[246:247], v13 offset:7296                    // 000000004794: D8EC1C80 F600000D
	v_mfma_i32_16x16x32_i8 v[180:183], a[102:103], v[214:215], v[180:183]// 00000000479C: D3D700B4 0ED3AD66
	v_mfma_i32_16x16x32_i8 v[180:183], a[104:105], v[216:217], v[180:183]// 0000000047A4: D3D700B4 0ED3B168
	ds_read_b64 v[248:249], v13 offset:8192                    // 0000000047AC: D8EC2000 F800000D
	ds_read_b64 v[250:251], v13 offset:8320                    // 0000000047B4: D8EC2080 FA00000D
	v_mfma_i32_16x16x32_i8 v[180:183], a[106:107], v[218:219], v[180:183]// 0000000047BC: D3D700B4 0ED3B56A
	buffer_load_dwordx4 a[236:239], v42, s[24:27], 0 offen offset:3072// 0000000047C4: E05C1C00 8086EC2A
	v_mfma_i32_16x16x32_i8 v[180:183], a[108:109], v[220:221], v[180:183]// 0000000047CC: D3D700B4 0ED3B96C
	ds_read_b64 v[252:253], v13 offset:9216                    // 0000000047D4: D8EC2400 FC00000D
	ds_read_b64 v[254:255], v13 offset:9344                    // 0000000047DC: D8EC2480 FE00000D
	v_mfma_i32_16x16x32_i8 v[180:183], a[110:111], v[222:223], v[180:183]// 0000000047E4: D3D700B4 0ED3BD6E
	v_cvt_f32_i32_e32 v168, v168                               // 0000000047EC: 7F500BA8
	v_cvt_f32_i32_e32 v169, v169                               // 0000000047F0: 7F520BA9
	v_cvt_f32_i32_e32 v170, v170                               // 0000000047F4: 7F540BAA
	v_cvt_f32_i32_e32 v171, v171                               // 0000000047F8: 7F560BAB
	v_cvt_f32_i32_e32 v172, v172                               // 0000000047FC: 7F580BAC
	v_cvt_f32_i32_e32 v173, v173                               // 000000004800: 7F5A0BAD
	v_cvt_f32_i32_e32 v174, v174                               // 000000004804: 7F5C0BAE
	v_cvt_f32_i32_e32 v175, v175                               // 000000004808: 7F5E0BAF
	v_pk_fma_f32 v[96:97], v[24:25], v[160:161], v[96:97]      // 00000000480C: D3B04060 1D834118
	v_pk_fma_f32 v[98:99], v[24:25], v[162:163], v[98:99]      // 000000004814: D3B04062 1D8B4518
	v_pk_fma_f32 v[100:101], v[8:9], v[164:165], v[100:101]    // 00000000481C: D3B04064 1D934908
	v_pk_fma_f32 v[102:103], v[8:9], v[166:167], v[102:103]    // 000000004824: D3B04066 1D9B4D08
	v_pk_fma_f32 v[104:105], v[24:25], v[168:169], v[104:105]  // 00000000482C: D3B04068 1DA35118
	v_pk_fma_f32 v[106:107], v[24:25], v[170:171], v[106:107]  // 000000004834: D3B0406A 1DAB5518
	v_pk_fma_f32 v[108:109], v[8:9], v[172:173], v[108:109]    // 00000000483C: D3B0406C 1DB35908
	v_pk_fma_f32 v[110:111], v[8:9], v[174:175], v[110:111]    // 000000004844: D3B0406E 1DBB5D08
	v_mfma_i32_16x16x32_i8 v[184:187], a[112:113], v[192:193], 0// 00000000484C: D3D700B8 0A038170
	v_mfma_i32_16x16x32_i8 v[184:187], a[114:115], v[194:195], v[184:187]// 000000004854: D3D700B8 0EE38572
	buffer_load_dwordx4 a[240:243], v43, s[24:27], 0 offen     // 00000000485C: E05C1000 8086F02B
	v_mfma_i32_16x16x32_i8 v[184:187], a[116:117], v[196:197], v[184:187]// 000000004864: D3D700B8 0EE38974
	v_mfma_i32_16x16x32_i8 v[184:187], a[118:119], v[198:199], v[184:187]// 00000000486C: D3D700B8 0EE38D76
	v_mfma_i32_16x16x32_i8 v[184:187], a[120:121], v[200:201], v[184:187]// 000000004874: D3D700B8 0EE39178
	v_mfma_i32_16x16x32_i8 v[184:187], a[122:123], v[202:203], v[184:187]// 00000000487C: D3D700B8 0EE3957A
	buffer_load_dwordx4 a[244:247], v43, s[24:27], 0 offen offset:1024// 000000004884: E05C1400 8086F42B
	v_mfma_i32_16x16x32_i8 v[184:187], a[124:125], v[204:205], v[184:187]// 00000000488C: D3D700B8 0EE3997C
	v_mfma_i32_16x16x32_i8 v[184:187], a[126:127], v[206:207], v[184:187]// 000000004894: D3D700B8 0EE39D7E
	v_mfma_i32_16x16x32_i8 v[188:191], a[112:113], v[208:209], 0// 00000000489C: D3D700BC 0A03A170
	v_mfma_i32_16x16x32_i8 v[188:191], a[114:115], v[210:211], v[188:191]// 0000000048A4: D3D700BC 0EF3A572
	buffer_load_dwordx4 a[248:251], v43, s[24:27], 0 offen offset:2048// 0000000048AC: E05C1800 8086F82B
	v_mfma_i32_16x16x32_i8 v[188:191], a[116:117], v[212:213], v[188:191]// 0000000048B4: D3D700BC 0EF3A974
	v_mfma_i32_16x16x32_i8 v[188:191], a[118:119], v[214:215], v[188:191]// 0000000048BC: D3D700BC 0EF3AD76
	v_mfma_i32_16x16x32_i8 v[188:191], a[120:121], v[216:217], v[188:191]// 0000000048C4: D3D700BC 0EF3B178
	v_mfma_i32_16x16x32_i8 v[188:191], a[122:123], v[218:219], v[188:191]// 0000000048CC: D3D700BC 0EF3B57A
	buffer_load_dwordx4 a[252:255], v43, s[24:27], 0 offen offset:3072// 0000000048D4: E05C1C00 8086FC2B
	v_mfma_i32_16x16x32_i8 v[188:191], a[124:125], v[220:221], v[188:191]// 0000000048DC: D3D700BC 0EF3B97C
	v_mfma_i32_16x16x32_i8 v[188:191], a[126:127], v[222:223], v[188:191]// 0000000048E4: D3D700BC 0EF3BD7E
	s_add_u32 s24, s58, s24                                    // 0000000048EC: 8018183A
	s_addc_u32 s25, 0, s25                                     // 0000000048F0: 82191980
	s_add_u32 s28, s84, s28                                    // 0000000048F4: 801C1C54
	s_addc_u32 s29, 0, s29                                     // 0000000048F8: 821D1D80
	v_cvt_f32_i32_e32 v176, v176                               // 0000000048FC: 7F600BB0
	v_cvt_f32_i32_e32 v177, v177                               // 000000004900: 7F620BB1
	v_cvt_f32_i32_e32 v178, v178                               // 000000004904: 7F640BB2
	v_cvt_f32_i32_e32 v179, v179                               // 000000004908: 7F660BB3
	v_cvt_f32_i32_e32 v180, v180                               // 00000000490C: 7F680BB4
	v_cvt_f32_i32_e32 v181, v181                               // 000000004910: 7F6A0BB5
	v_cvt_f32_i32_e32 v182, v182                               // 000000004914: 7F6C0BB6
	v_cvt_f32_i32_e32 v183, v183                               // 000000004918: 7F6E0BB7
	v_cvt_f32_i32_e32 v184, v184                               // 00000000491C: 7F700BB8
	v_cvt_f32_i32_e32 v185, v185                               // 000000004920: 7F720BB9
	v_cvt_f32_i32_e32 v186, v186                               // 000000004924: 7F740BBA
	v_cvt_f32_i32_e32 v187, v187                               // 000000004928: 7F760BBB
	v_cvt_f32_i32_e32 v188, v188                               // 00000000492C: 7F780BBC
	v_cvt_f32_i32_e32 v189, v189                               // 000000004930: 7F7A0BBD
	v_cvt_f32_i32_e32 v190, v190                               // 000000004934: 7F7C0BBE
	v_cvt_f32_i32_e32 v191, v191                               // 000000004938: 7F7E0BBF
	v_pk_fma_f32 v[112:113], v[24:25], v[176:177], v[112:113]  // 00000000493C: D3B04070 1DC36118
	v_pk_fma_f32 v[114:115], v[24:25], v[178:179], v[114:115]  // 000000004944: D3B04072 1DCB6518
	v_pk_fma_f32 v[116:117], v[8:9], v[180:181], v[116:117]    // 00000000494C: D3B04074 1DD36908
	v_pk_fma_f32 v[118:119], v[8:9], v[182:183], v[118:119]    // 000000004954: D3B04076 1DDB6D08
	v_pk_fma_f32 v[120:121], v[24:25], v[184:185], v[120:121]  // 00000000495C: D3B04078 1DE37118
	v_pk_fma_f32 v[122:123], v[24:25], v[186:187], v[122:123]  // 000000004964: D3B0407A 1DEB7518
	v_pk_fma_f32 v[124:125], v[8:9], v[188:189], v[124:125]    // 00000000496C: D3B0407C 1DF37908
	v_pk_fma_f32 v[126:127], v[8:9], v[190:191], v[126:127]    // 000000004974: D3B0407E 1DFB7D08
	s_addk_i32 s80, 0x100                                      // 00000000497C: B7500100
	s_cmp_lt_i32 s80, s81                                      // 000000004980: BF045150
	s_cbranch_scc0 label_0B49                                  // 000000004984: BF8403A7
	s_waitcnt vmcnt(24) lgkmcnt(0)                             // 000000004988: BF8C4078
	s_barrier                                                  // 00000000498C: BF8A0000
	v_mfma_i32_16x16x32_i8 v[128:131], a[128:129], v[224:225], 0// 000000004990: D3D70080 0A03C180
	ds_read_b64 v[192:193], v2 offset:18432                    // 000000004998: D8EC4800 C0000002
	ds_read_b64 v[196:197], v2 offset:26752                    // 0000000049A0: D8EC6880 C4000002
	v_mfma_i32_16x16x32_i8 v[128:131], a[130:131], v[226:227], v[128:131]// 0000000049A8: D3D70080 0E03C582
	buffer_load_dwordx4 a[0:3], v36, s[24:27], 0 offen         // 0000000049B0: E05C1000 80860024
	v_mfma_i32_16x16x32_i8 v[128:131], a[132:133], v[228:229], v[128:131]// 0000000049B8: D3D70080 0E03C984
	ds_read_b64 v[200:201], v2 offset:18560                    // 0000000049C0: D8EC4880 C8000002
	ds_read_b64 v[204:205], v2 offset:26880                    // 0000000049C8: D8EC6900 CC000002
	v_mfma_i32_16x16x32_i8 v[128:131], a[134:135], v[230:231], v[128:131]// 0000000049D0: D3D70080 0E03CD86
	buffer_load_dword v28, s[20:23], 0 offen lds               // 0000000049D8: E0511000 8005001C
	buffer_load_dword v28, s[20:23], 0 offen offset:256 lds    // 0000000049E0: E0511100 8005001C
	s_add_u32 m0, 0x820, s51                                   // 0000000049E8: 807C33FF 00000820
	buffer_load_dword v15, v6, s[28:31], 0 offen               // 0000000049F0: E0501000 80070F06
	v_mfma_i32_16x16x32_i8 v[128:131], a[136:137], v[232:233], v[128:131]// 0000000049F8: D3D70080 0E03D188
	ds_read_b64 v[208:209], v2 offset:18688                    // 000000004A00: D8EC4900 D0000002
	ds_read_b64 v[212:213], v2 offset:27008                    // 000000004A08: D8EC6980 D4000002
	v_mfma_i32_16x16x32_i8 v[128:131], a[138:139], v[234:235], v[128:131]// 000000004A10: D3D70080 0E03D58A
	buffer_load_dwordx4 a[4:7], v36, s[24:27], 0 offen offset:1024// 000000004A18: E05C1400 80860424
	v_mfma_i32_16x16x32_i8 v[128:131], a[140:141], v[236:237], v[128:131]// 000000004A20: D3D70080 0E03D98C
	ds_read_b64 v[216:217], v2 offset:18816                    // 000000004A28: D8EC4980 D8000002
	ds_read_b64 v[220:221], v2 offset:27136                    // 000000004A30: D8EC6A00 DC000002
	v_mfma_i32_16x16x32_i8 v[128:131], a[142:143], v[238:239], v[128:131]// 000000004A38: D3D70080 0E03DD8E
	buffer_load_dword v29, s[20:23], 0 offen lds               // 000000004A40: E0511000 8005001D
	buffer_load_dword v29, s[20:23], 0 offen offset:256 lds    // 000000004A48: E0511100 8005001D
	s_add_u32 m0, 0x1040, s51                                  // 000000004A50: 807C33FF 00001040
	s_waitcnt lgkmcnt(4)                                       // 000000004A58: BF8CC47F
	v_and_b32_e32 v195, 0xffff0000, v193                       // 000000004A5C: 278782FF FFFF0000
	v_lshlrev_b32_e32 v194, 16, v193                           // 000000004A64: 25858290
	v_and_b32_e32 v193, 0xffff0000, v192                       // 000000004A68: 278380FF FFFF0000
	v_lshlrev_b32_e32 v192, 16, v192                           // 000000004A70: 25818090
	v_and_b32_e32 v199, 0xffff0000, v197                       // 000000004A74: 278F8AFF FFFF0000
	v_lshlrev_b32_e32 v198, 16, v197                           // 000000004A7C: 258D8A90
	v_and_b32_e32 v197, 0xffff0000, v196                       // 000000004A80: 278B88FF FFFF0000
	v_lshlrev_b32_e32 v196, 16, v196                           // 000000004A88: 25898890
	v_and_b32_e32 v203, 0xffff0000, v201                       // 000000004A8C: 279792FF FFFF0000
	v_lshlrev_b32_e32 v202, 16, v201                           // 000000004A94: 25959290
	v_and_b32_e32 v201, 0xffff0000, v200                       // 000000004A98: 279390FF FFFF0000
	v_lshlrev_b32_e32 v200, 16, v200                           // 000000004AA0: 25919090
	v_and_b32_e32 v207, 0xffff0000, v205                       // 000000004AA4: 279F9AFF FFFF0000
	v_lshlrev_b32_e32 v206, 16, v205                           // 000000004AAC: 259D9A90
	v_and_b32_e32 v205, 0xffff0000, v204                       // 000000004AB0: 279B98FF FFFF0000
	v_lshlrev_b32_e32 v204, 16, v204                           // 000000004AB8: 25999890
	v_mul_f32_dpp v192, v14, v192 row_newbcast:0 row_mask:0xf bank_mask:0xf// 000000004ABC: 0B8180FA FF01500E
	v_mul_f32_dpp v193, v14, v193 row_newbcast:1 row_mask:0xf bank_mask:0xf// 000000004AC4: 0B8382FA FF01510E
	v_mul_f32_dpp v194, v14, v194 row_newbcast:2 row_mask:0xf bank_mask:0xf// 000000004ACC: 0B8584FA FF01520E
	v_mul_f32_dpp v195, v14, v195 row_newbcast:3 row_mask:0xf bank_mask:0xf// 000000004AD4: 0B8786FA FF01530E
	v_mul_f32_dpp v196, v14, v196 row_newbcast:0 row_mask:0xf bank_mask:0xf// 000000004ADC: 0B8988FA FF01500E
	v_mul_f32_dpp v197, v14, v197 row_newbcast:1 row_mask:0xf bank_mask:0xf// 000000004AE4: 0B8B8AFA FF01510E
	v_mul_f32_dpp v198, v14, v198 row_newbcast:2 row_mask:0xf bank_mask:0xf// 000000004AEC: 0B8D8CFA FF01520E
	v_mul_f32_dpp v199, v14, v199 row_newbcast:3 row_mask:0xf bank_mask:0xf// 000000004AF4: 0B8F8EFA FF01530E
	v_mul_f32_dpp v200, v14, v200 row_newbcast:4 row_mask:0xf bank_mask:0xf// 000000004AFC: 0B9190FA FF01540E
	v_mul_f32_dpp v201, v14, v201 row_newbcast:5 row_mask:0xf bank_mask:0xf// 000000004B04: 0B9392FA FF01550E
	v_mul_f32_dpp v202, v14, v202 row_newbcast:6 row_mask:0xf bank_mask:0xf// 000000004B0C: 0B9594FA FF01560E
	v_mul_f32_dpp v203, v14, v203 row_newbcast:7 row_mask:0xf bank_mask:0xf// 000000004B14: 0B9796FA FF01570E
	v_mul_f32_dpp v204, v14, v204 row_newbcast:4 row_mask:0xf bank_mask:0xf// 000000004B1C: 0B9998FA FF01540E
	v_mul_f32_dpp v205, v14, v205 row_newbcast:5 row_mask:0xf bank_mask:0xf// 000000004B24: 0B9B9AFA FF01550E
	v_mul_f32_dpp v206, v14, v206 row_newbcast:6 row_mask:0xf bank_mask:0xf// 000000004B2C: 0B9D9CFA FF01560E
	v_mul_f32_dpp v207, v14, v207 row_newbcast:7 row_mask:0xf bank_mask:0xf// 000000004B34: 0B9F9EFA FF01570E
	v_mfma_i32_16x16x32_i8 v[132:135], a[128:129], v[240:241], 0// 000000004B3C: D3D70084 0A03E180
	v_mfma_i32_16x16x32_i8 v[132:135], a[130:131], v[242:243], v[132:135]// 000000004B44: D3D70084 0E13E582
	buffer_load_dwordx4 a[8:11], v36, s[24:27], 0 offen offset:2048// 000000004B4C: E05C1800 80860824
	v_mfma_i32_16x16x32_i8 v[132:135], a[132:133], v[244:245], v[132:135]// 000000004B54: D3D70084 0E13E984
	v_mfma_i32_16x16x32_i8 v[132:135], a[134:135], v[246:247], v[132:135]// 000000004B5C: D3D70084 0E13ED86
	buffer_load_dword v30, s[20:23], 0 offen lds               // 000000004B64: E0511000 8005001E
	buffer_load_dword v30, s[20:23], 0 offen offset:256 lds    // 000000004B6C: E0511100 8005001E
	s_add_u32 m0, 0x1860, s51                                  // 000000004B74: 807C33FF 00001860
	v_mfma_i32_16x16x32_i8 v[132:135], a[136:137], v[248:249], v[132:135]// 000000004B7C: D3D70084 0E13F188
	v_mfma_i32_16x16x32_i8 v[132:135], a[138:139], v[250:251], v[132:135]// 000000004B84: D3D70084 0E13F58A
	buffer_load_dwordx4 a[12:15], v36, s[24:27], 0 offen offset:3072// 000000004B8C: E05C1C00 80860C24
	v_mfma_i32_16x16x32_i8 v[132:135], a[140:141], v[252:253], v[132:135]// 000000004B94: D3D70084 0E13F98C
	v_mfma_i32_16x16x32_i8 v[132:135], a[142:143], v[254:255], v[132:135]// 000000004B9C: D3D70084 0E13FD8E
	buffer_load_dword v31, s[20:23], 0 offen lds               // 000000004BA4: E0511000 8005001F
	buffer_load_dword v31, s[20:23], 0 offen offset:256 lds    // 000000004BAC: E0511100 8005001F
	s_add_u32 m0, 0x2080, s51                                  // 000000004BB4: 807C33FF 00002080
	s_waitcnt lgkmcnt(0)                                       // 000000004BBC: BF8CC07F
	v_and_b32_e32 v211, 0xffff0000, v209                       // 000000004BC0: 27A7A2FF FFFF0000
	v_lshlrev_b32_e32 v210, 16, v209                           // 000000004BC8: 25A5A290
	v_and_b32_e32 v209, 0xffff0000, v208                       // 000000004BCC: 27A3A0FF FFFF0000
	v_lshlrev_b32_e32 v208, 16, v208                           // 000000004BD4: 25A1A090
	v_and_b32_e32 v215, 0xffff0000, v213                       // 000000004BD8: 27AFAAFF FFFF0000
	v_lshlrev_b32_e32 v214, 16, v213                           // 000000004BE0: 25ADAA90
	v_and_b32_e32 v213, 0xffff0000, v212                       // 000000004BE4: 27ABA8FF FFFF0000
	v_lshlrev_b32_e32 v212, 16, v212                           // 000000004BEC: 25A9A890
	v_and_b32_e32 v219, 0xffff0000, v217                       // 000000004BF0: 27B7B2FF FFFF0000
	v_lshlrev_b32_e32 v218, 16, v217                           // 000000004BF8: 25B5B290
	v_and_b32_e32 v217, 0xffff0000, v216                       // 000000004BFC: 27B3B0FF FFFF0000
	v_lshlrev_b32_e32 v216, 16, v216                           // 000000004C04: 25B1B090
	v_and_b32_e32 v223, 0xffff0000, v221                       // 000000004C08: 27BFBAFF FFFF0000
	v_lshlrev_b32_e32 v222, 16, v221                           // 000000004C10: 25BDBA90
	v_and_b32_e32 v221, 0xffff0000, v220                       // 000000004C14: 27BBB8FF FFFF0000
	v_lshlrev_b32_e32 v220, 16, v220                           // 000000004C1C: 25B9B890
	v_mul_f32_dpp v208, v14, v208 row_newbcast:8 row_mask:0xf bank_mask:0xf// 000000004C20: 0BA1A0FA FF01580E
	v_mul_f32_dpp v209, v14, v209 row_newbcast:9 row_mask:0xf bank_mask:0xf// 000000004C28: 0BA3A2FA FF01590E
	v_mul_f32_dpp v210, v14, v210 row_newbcast:10 row_mask:0xf bank_mask:0xf// 000000004C30: 0BA5A4FA FF015A0E
	v_mul_f32_dpp v211, v14, v211 row_newbcast:11 row_mask:0xf bank_mask:0xf// 000000004C38: 0BA7A6FA FF015B0E
	v_mul_f32_dpp v212, v14, v212 row_newbcast:8 row_mask:0xf bank_mask:0xf// 000000004C40: 0BA9A8FA FF01580E
	v_mul_f32_dpp v213, v14, v213 row_newbcast:9 row_mask:0xf bank_mask:0xf// 000000004C48: 0BABAAFA FF01590E
	v_mul_f32_dpp v214, v14, v214 row_newbcast:10 row_mask:0xf bank_mask:0xf// 000000004C50: 0BADACFA FF015A0E
	v_mul_f32_dpp v215, v14, v215 row_newbcast:11 row_mask:0xf bank_mask:0xf// 000000004C58: 0BAFAEFA FF015B0E
	v_mul_f32_dpp v216, v14, v216 row_newbcast:12 row_mask:0xf bank_mask:0xf// 000000004C60: 0BB1B0FA FF015C0E
	v_mul_f32_dpp v217, v14, v217 row_newbcast:13 row_mask:0xf bank_mask:0xf// 000000004C68: 0BB3B2FA FF015D0E
	v_mul_f32_dpp v218, v14, v218 row_newbcast:14 row_mask:0xf bank_mask:0xf// 000000004C70: 0BB5B4FA FF015E0E
	v_mul_f32_dpp v219, v14, v219 row_newbcast:15 row_mask:0xf bank_mask:0xf// 000000004C78: 0BB7B6FA FF015F0E
	v_mul_f32_dpp v220, v14, v220 row_newbcast:12 row_mask:0xf bank_mask:0xf// 000000004C80: 0BB9B8FA FF015C0E
	v_mul_f32_dpp v221, v14, v221 row_newbcast:13 row_mask:0xf bank_mask:0xf// 000000004C88: 0BBBBAFA FF015D0E
	v_mul_f32_dpp v222, v14, v222 row_newbcast:14 row_mask:0xf bank_mask:0xf// 000000004C90: 0BBDBCFA FF015E0E
	v_mul_f32_dpp v223, v14, v223 row_newbcast:15 row_mask:0xf bank_mask:0xf// 000000004C98: 0BBFBEFA FF015F0E
	v_mfma_i32_16x16x32_i8 v[136:139], a[144:145], v[224:225], 0// 000000004CA0: D3D70088 0A03C190
	v_mfma_i32_16x16x32_i8 v[136:139], a[146:147], v[226:227], v[136:139]// 000000004CA8: D3D70088 0E23C592
	buffer_load_dwordx4 a[16:19], v37, s[24:27], 0 offen       // 000000004CB0: E05C1000 80861025
	v_mfma_i32_16x16x32_i8 v[136:139], a[148:149], v[228:229], v[136:139]// 000000004CB8: D3D70088 0E23C994
	v_mfma_i32_16x16x32_i8 v[136:139], a[150:151], v[230:231], v[136:139]// 000000004CC0: D3D70088 0E23CD96
	buffer_load_dword v32, s[20:23], 0 offen lds               // 000000004CC8: E0511000 80050020
	buffer_load_dword v32, s[20:23], 0 offen offset:256 lds    // 000000004CD0: E0511100 80050020
	s_add_u32 m0, 0x28a0, s51                                  // 000000004CD8: 807C33FF 000028A0
	v_mfma_i32_16x16x32_i8 v[136:139], a[152:153], v[232:233], v[136:139]// 000000004CE0: D3D70088 0E23D198
	v_mfma_i32_16x16x32_i8 v[136:139], a[154:155], v[234:235], v[136:139]// 000000004CE8: D3D70088 0E23D59A
	buffer_load_dwordx4 a[20:23], v37, s[24:27], 0 offen offset:1024// 000000004CF0: E05C1400 80861425
	v_mfma_i32_16x16x32_i8 v[136:139], a[156:157], v[236:237], v[136:139]// 000000004CF8: D3D70088 0E23D99C
	v_mfma_i32_16x16x32_i8 v[136:139], a[158:159], v[238:239], v[136:139]// 000000004D00: D3D70088 0E23DD9E
	buffer_load_dword v33, s[20:23], 0 offen lds               // 000000004D08: E0511000 80050021
	buffer_load_dword v33, s[20:23], 0 offen offset:256 lds    // 000000004D10: E0511100 80050021
	s_add_u32 m0, 0x30c0, s51                                  // 000000004D18: 807C33FF 000030C0
	v_mov_b32_e32 v48, 0x358637bd                              // 000000004D20: 7E6002FF 358637BD
	v_mov_b32_e32 v49, 0x358637bd                              // 000000004D28: 7E6202FF 358637BD
	v_max3_f32 v48, |v192|, |v193|, v48                        // 000000004D30: D1D30330 04C383C0
	v_max3_f32 v48, |v194|, |v195|, v48                        // 000000004D38: D1D30330 04C387C2
	v_max3_f32 v49, |v196|, |v197|, v49                        // 000000004D40: D1D30331 04C78BC4
	v_max3_f32 v49, |v198|, |v199|, v49                        // 000000004D48: D1D30331 04C78FC6
	v_max3_f32 v48, |v200|, |v201|, v48                        // 000000004D50: D1D30330 04C393C8
	v_max3_f32 v48, |v202|, |v203|, v48                        // 000000004D58: D1D30330 04C397CA
	v_max3_f32 v49, |v204|, |v205|, v49                        // 000000004D60: D1D30331 04C79BCC
	v_max3_f32 v49, |v206|, |v207|, v49                        // 000000004D68: D1D30331 04C79FCE
	v_max3_f32 v48, |v208|, |v209|, v48                        // 000000004D70: D1D30330 04C3A3D0
	v_max3_f32 v48, |v210|, |v211|, v48                        // 000000004D78: D1D30330 04C3A7D2
	v_max3_f32 v49, |v212|, |v213|, v49                        // 000000004D80: D1D30331 04C7ABD4
	v_max3_f32 v49, |v214|, |v215|, v49                        // 000000004D88: D1D30331 04C7AFD6
	v_max3_f32 v48, |v216|, |v217|, v48                        // 000000004D90: D1D30330 04C3B3D8
	v_max3_f32 v48, |v218|, |v219|, v48                        // 000000004D98: D1D30330 04C3B7DA
	v_max3_f32 v49, |v220|, |v221|, v49                        // 000000004DA0: D1D30331 04C7BBDC
	v_max3_f32 v49, |v222|, |v223|, v49                        // 000000004DA8: D1D30331 04C7BFDE
	v_mfma_i32_16x16x32_i8 v[140:143], a[144:145], v[240:241], 0// 000000004DB0: D3D7008C 0A03E190
	ds_write_b64 v3, v[48:49]                                  // 000000004DB8: D89A0000 00003003
	v_mfma_i32_16x16x32_i8 v[140:143], a[146:147], v[242:243], v[140:143]// 000000004DC0: D3D7008C 0E33E592
	buffer_load_dwordx4 a[24:27], v37, s[24:27], 0 offen offset:2048// 000000004DC8: E05C1800 80861825
	v_mfma_i32_16x16x32_i8 v[140:143], a[148:149], v[244:245], v[140:143]// 000000004DD0: D3D7008C 0E33E994
	v_mfma_i32_16x16x32_i8 v[140:143], a[150:151], v[246:247], v[140:143]// 000000004DD8: D3D7008C 0E33ED96
	buffer_load_dword v34, s[20:23], 0 offen lds               // 000000004DE0: E0511000 80050022
	buffer_load_dword v34, s[20:23], 0 offen offset:256 lds    // 000000004DE8: E0511100 80050022
	s_add_u32 m0, 0x38e0, s51                                  // 000000004DF0: 807C33FF 000038E0
	v_mfma_i32_16x16x32_i8 v[140:143], a[152:153], v[248:249], v[140:143]// 000000004DF8: D3D7008C 0E33F198
	v_mfma_i32_16x16x32_i8 v[140:143], a[154:155], v[250:251], v[140:143]// 000000004E00: D3D7008C 0E33F59A
	buffer_load_dwordx4 a[28:31], v37, s[24:27], 0 offen offset:3072// 000000004E08: E05C1C00 80861C25
	v_mfma_i32_16x16x32_i8 v[140:143], a[156:157], v[252:253], v[140:143]// 000000004E10: D3D7008C 0E33F99C
	v_mfma_i32_16x16x32_i8 v[140:143], a[158:159], v[254:255], v[140:143]// 000000004E18: D3D7008C 0E33FD9E
	buffer_load_dword v35, s[20:23], 0 offen lds               // 000000004E20: E0511000 80050023
	buffer_load_dword v35, s[20:23], 0 offen offset:256 lds    // 000000004E28: E0511100 80050023
	s_add_u32 m0, 0, s50                                       // 000000004E30: 807C3280
	s_waitcnt lgkmcnt(0)                                       // 000000004E34: BF8CC07F
	s_barrier                                                  // 000000004E38: BF8A0000
	v_cvt_f32_i32_e32 v128, v128                               // 000000004E3C: 7F000B80
	v_cvt_f32_i32_e32 v129, v129                               // 000000004E40: 7F020B81
	v_cvt_f32_i32_e32 v130, v130                               // 000000004E44: 7F040B82
	v_cvt_f32_i32_e32 v131, v131                               // 000000004E48: 7F060B83
	v_cvt_f32_i32_e32 v132, v132                               // 000000004E4C: 7F080B84
	v_cvt_f32_i32_e32 v133, v133                               // 000000004E50: 7F0A0B85
	v_cvt_f32_i32_e32 v134, v134                               // 000000004E54: 7F0C0B86
	v_cvt_f32_i32_e32 v135, v135                               // 000000004E58: 7F0E0B87
	v_cvt_f32_i32_e32 v136, v136                               // 000000004E5C: 7F100B88
	v_cvt_f32_i32_e32 v137, v137                               // 000000004E60: 7F120B89
	v_cvt_f32_i32_e32 v138, v138                               // 000000004E64: 7F140B8A
	v_cvt_f32_i32_e32 v139, v139                               // 000000004E68: 7F160B8B
	v_cvt_f32_i32_e32 v140, v140                               // 000000004E6C: 7F180B8C
	v_cvt_f32_i32_e32 v141, v141                               // 000000004E70: 7F1A0B8D
	v_cvt_f32_i32_e32 v142, v142                               // 000000004E74: 7F1C0B8E
	v_cvt_f32_i32_e32 v143, v143                               // 000000004E78: 7F1E0B8F
	s_waitcnt vmcnt(40)                                        // 000000004E7C: BF8C8F78
	v_mfma_i32_16x16x32_i8 v[144:147], a[160:161], v[224:225], 0// 000000004E80: D3D70090 0A03C1A0
	ds_read_b64 v[48:49], v4                                   // 000000004E88: D8EC0000 30000004
	ds_read_b64 v[50:51], v4 offset:128                        // 000000004E90: D8EC0080 32000004
	v_mfma_i32_16x16x32_i8 v[144:147], a[162:163], v[226:227], v[144:147]// 000000004E98: D3D70090 0E43C5A2
	buffer_load_dwordx4 a[32:35], v38, s[24:27], 0 offen       // 000000004EA0: E05C1000 80862026
	v_mfma_i32_16x16x32_i8 v[144:147], a[164:165], v[228:229], v[144:147]// 000000004EA8: D3D70090 0E43C9A4
	ds_read_b64 v[52:53], v4 offset:256                        // 000000004EB0: D8EC0100 34000004
	ds_read_b64 v[54:55], v4 offset:384                        // 000000004EB8: D8EC0180 36000004
	v_mfma_i32_16x16x32_i8 v[144:147], a[166:167], v[230:231], v[144:147]// 000000004EC0: D3D70090 0E43CDA6
	v_mfma_i32_16x16x32_i8 v[144:147], a[168:169], v[232:233], v[144:147]// 000000004EC8: D3D70090 0E43D1A8
	ds_read_b64 v[56:57], v4 offset:512                        // 000000004ED0: D8EC0200 38000004
	ds_read_b64 v[58:59], v4 offset:640                        // 000000004ED8: D8EC0280 3A000004
	v_mfma_i32_16x16x32_i8 v[144:147], a[170:171], v[234:235], v[144:147]// 000000004EE0: D3D70090 0E43D5AA
	buffer_load_dwordx4 a[36:39], v38, s[24:27], 0 offen offset:1024// 000000004EE8: E05C1400 80862426
	v_mfma_i32_16x16x32_i8 v[144:147], a[172:173], v[236:237], v[144:147]// 000000004EF0: D3D70090 0E43D9AC
	ds_read_b64 v[60:61], v4 offset:768                        // 000000004EF8: D8EC0300 3C000004
	ds_read_b64 v[62:63], v4 offset:896                        // 000000004F00: D8EC0380 3E000004
	v_mfma_i32_16x16x32_i8 v[144:147], a[174:175], v[238:239], v[144:147]// 000000004F08: D3D70090 0E43DDAE
	v_mov_b32_e32 v8, v27                                      // 000000004F10: 7E10031B
	v_mov_b32_e32 v9, v27                                      // 000000004F14: 7E12031B
	v_mov_b32_e32 v27, v26                                     // 000000004F18: 7E36031A
	v_pk_fma_f32 v[64:65], v[26:27], v[128:129], v[64:65]      // 000000004F1C: D3B04040 1D03011A
	v_pk_fma_f32 v[66:67], v[26:27], v[130:131], v[66:67]      // 000000004F24: D3B04042 1D0B051A
	v_pk_fma_f32 v[68:69], v[8:9], v[132:133], v[68:69]        // 000000004F2C: D3B04044 1D130908
	v_pk_fma_f32 v[70:71], v[8:9], v[134:135], v[70:71]        // 000000004F34: D3B04046 1D1B0D08
	v_pk_fma_f32 v[72:73], v[26:27], v[136:137], v[72:73]      // 000000004F3C: D3B04048 1D23111A
	v_pk_fma_f32 v[74:75], v[26:27], v[138:139], v[74:75]      // 000000004F44: D3B0404A 1D2B151A
	v_pk_fma_f32 v[76:77], v[8:9], v[140:141], v[76:77]        // 000000004F4C: D3B0404C 1D331908
	v_pk_fma_f32 v[78:79], v[8:9], v[142:143], v[78:79]        // 000000004F54: D3B0404E 1D3B1D08
	s_waitcnt lgkmcnt(0)                                       // 000000004F5C: BF8CC07F
	v_mov_b32_e32 v22, 0x358637bd                              // 000000004F60: 7E2C02FF 358637BD
	v_mov_b32_e32 v23, 0x358637bd                              // 000000004F68: 7E2E02FF 358637BD
	v_max3_f32 v22, |v48|, |v50|, v22                          // 000000004F70: D1D30316 045A6530
	v_max3_f32 v23, |v49|, |v51|, v23                          // 000000004F78: D1D30317 045E6731
	v_max3_f32 v22, |v52|, |v54|, v22                          // 000000004F80: D1D30316 045A6D34
	v_max3_f32 v23, |v53|, |v55|, v23                          // 000000004F88: D1D30317 045E6F35
	v_max3_f32 v22, |v56|, |v58|, v22                          // 000000004F90: D1D30316 045A7538
	v_max3_f32 v23, |v57|, |v59|, v23                          // 000000004F98: D1D30317 045E7739
	v_max3_f32 v22, |v60|, |v62|, v22                          // 000000004FA0: D1D30316 045A7D3C
	v_max3_f32 v23, |v61|, |v63|, v23                          // 000000004FA8: D1D30317 045E7F3D
	v_mfma_i32_16x16x32_i8 v[148:151], a[160:161], v[240:241], 0// 000000004FB0: D3D70094 0A03E1A0
	ds_read_b64 v[48:49], v4 offset:1024                       // 000000004FB8: D8EC0400 30000004
	ds_read_b64 v[50:51], v4 offset:1152                       // 000000004FC0: D8EC0480 32000004
	v_mfma_i32_16x16x32_i8 v[148:151], a[162:163], v[242:243], v[148:151]// 000000004FC8: D3D70094 0E53E5A2
	buffer_load_dwordx4 a[40:43], v38, s[24:27], 0 offen offset:2048// 000000004FD0: E05C1800 80862826
	v_mfma_i32_16x16x32_i8 v[148:151], a[164:165], v[244:245], v[148:151]// 000000004FD8: D3D70094 0E53E9A4
	ds_read_b64 v[52:53], v4 offset:1280                       // 000000004FE0: D8EC0500 34000004
	ds_read_b64 v[54:55], v4 offset:1408                       // 000000004FE8: D8EC0580 36000004
	v_mfma_i32_16x16x32_i8 v[148:151], a[166:167], v[246:247], v[148:151]// 000000004FF0: D3D70094 0E53EDA6
	v_mfma_i32_16x16x32_i8 v[148:151], a[168:169], v[248:249], v[148:151]// 000000004FF8: D3D70094 0E53F1A8
	ds_read_b64 v[56:57], v4 offset:1536                       // 000000005000: D8EC0600 38000004
	ds_read_b64 v[58:59], v4 offset:1664                       // 000000005008: D8EC0680 3A000004
	v_mfma_i32_16x16x32_i8 v[148:151], a[170:171], v[250:251], v[148:151]// 000000005010: D3D70094 0E53F5AA
	buffer_load_dwordx4 a[44:47], v38, s[24:27], 0 offen offset:3072// 000000005018: E05C1C00 80862C26
	v_mfma_i32_16x16x32_i8 v[148:151], a[172:173], v[252:253], v[148:151]// 000000005020: D3D70094 0E53F9AC
	ds_read_b64 v[60:61], v4 offset:1792                       // 000000005028: D8EC0700 3C000004
	ds_read_b64 v[62:63], v4 offset:1920                       // 000000005030: D8EC0780 3E000004
	v_mfma_i32_16x16x32_i8 v[148:151], a[174:175], v[254:255], v[148:151]// 000000005038: D3D70094 0E53FDAE
	v_mfma_i32_16x16x32_i8 v[152:155], a[176:177], v[224:225], 0// 000000005040: D3D70098 0A03C1B0
	v_mfma_i32_16x16x32_i8 v[152:155], a[178:179], v[226:227], v[152:155]// 000000005048: D3D70098 0E63C5B2
	buffer_load_dwordx4 a[48:51], v39, s[24:27], 0 offen       // 000000005050: E05C1000 80863027
	v_mfma_i32_16x16x32_i8 v[152:155], a[180:181], v[228:229], v[152:155]// 000000005058: D3D70098 0E63C9B4
	v_mfma_i32_16x16x32_i8 v[152:155], a[182:183], v[230:231], v[152:155]// 000000005060: D3D70098 0E63CDB6
	v_mfma_i32_16x16x32_i8 v[152:155], a[184:185], v[232:233], v[152:155]// 000000005068: D3D70098 0E63D1B8
	v_mfma_i32_16x16x32_i8 v[152:155], a[186:187], v[234:235], v[152:155]// 000000005070: D3D70098 0E63D5BA
	buffer_load_dwordx4 a[52:55], v39, s[24:27], 0 offen offset:1024// 000000005078: E05C1400 80863427
	v_mfma_i32_16x16x32_i8 v[152:155], a[188:189], v[236:237], v[152:155]// 000000005080: D3D70098 0E63D9BC
	v_mfma_i32_16x16x32_i8 v[152:155], a[190:191], v[238:239], v[152:155]// 000000005088: D3D70098 0E63DDBE
	s_waitcnt lgkmcnt(0)                                       // 000000005090: BF8CC07F
	v_max3_f32 v22, |v48|, |v50|, v22                          // 000000005094: D1D30316 045A6530
	v_max3_f32 v23, |v49|, |v51|, v23                          // 00000000509C: D1D30317 045E6731
	v_max3_f32 v22, |v52|, |v54|, v22                          // 0000000050A4: D1D30316 045A6D34
	v_max3_f32 v23, |v53|, |v55|, v23                          // 0000000050AC: D1D30317 045E6F35
	v_max3_f32 v22, |v56|, |v58|, v22                          // 0000000050B4: D1D30316 045A7538
	v_max3_f32 v23, |v57|, |v59|, v23                          // 0000000050BC: D1D30317 045E7739
	v_max3_f32 v22, |v60|, |v62|, v22                          // 0000000050C4: D1D30316 045A7D3C
	v_max3_f32 v23, |v61|, |v63|, v23                          // 0000000050CC: D1D30317 045E7F3D
	v_rcp_f32_e32 v22, v22                                     // 0000000050D4: 7E2C4516
	v_rcp_f32_e32 v23, v23                                     // 0000000050D8: 7E2E4517
	s_nop 1                                                    // 0000000050DC: BF800001
	v_mul_f32_e32 v22, 0x42fe0000, v22                         // 0000000050E0: 0A2C2CFF 42FE0000
	v_mul_f32_e32 v23, 0x42fe0000, v23                         // 0000000050E8: 0A2E2EFF 42FE0000
	v_rcp_f32_e32 v24, v22                                     // 0000000050F0: 7E304516
	v_rcp_f32_e32 v25, v23                                     // 0000000050F4: 7E324517
	v_mfma_i32_16x16x32_i8 v[156:159], a[176:177], v[240:241], 0// 0000000050F8: D3D7009C 0A03E1B0
	v_mfma_i32_16x16x32_i8 v[156:159], a[178:179], v[242:243], v[156:159]// 000000005100: D3D7009C 0E73E5B2
	buffer_load_dwordx4 a[56:59], v39, s[24:27], 0 offen offset:2048// 000000005108: E05C1800 80863827
	v_mfma_i32_16x16x32_i8 v[156:159], a[180:181], v[244:245], v[156:159]// 000000005110: D3D7009C 0E73E9B4
	v_mfma_i32_16x16x32_i8 v[156:159], a[182:183], v[246:247], v[156:159]// 000000005118: D3D7009C 0E73EDB6
	v_mfma_i32_16x16x32_i8 v[156:159], a[184:185], v[248:249], v[156:159]// 000000005120: D3D7009C 0E73F1B8
	v_mfma_i32_16x16x32_i8 v[156:159], a[186:187], v[250:251], v[156:159]// 000000005128: D3D7009C 0E73F5BA
	buffer_load_dwordx4 a[60:63], v39, s[24:27], 0 offen offset:3072// 000000005130: E05C1C00 80863C27
	v_mfma_i32_16x16x32_i8 v[156:159], a[188:189], v[252:253], v[156:159]// 000000005138: D3D7009C 0E73F9BC
	v_mfma_i32_16x16x32_i8 v[156:159], a[190:191], v[254:255], v[156:159]// 000000005140: D3D7009C 0E73FDBE
	v_mul_f32_e32 v192, v22, v192                              // 000000005148: 0B818116
	v_mul_f32_e32 v193, v22, v193                              // 00000000514C: 0B838316
	v_mul_f32_e32 v194, v22, v194                              // 000000005150: 0B858516
	v_mul_f32_e32 v195, v22, v195                              // 000000005154: 0B878716
	v_cvt_i32_f32_e32 v192, v192                               // 000000005158: 7F8011C0
	v_cvt_i32_f32_e32 v193, v193                               // 00000000515C: 7F8211C1
	v_cvt_i32_f32_e32 v194, v194                               // 000000005160: 7F8411C2
	v_cvt_i32_f32_e32 v195, v195                               // 000000005164: 7F8611C3
	v_perm_b32 v192, v193, v192, s53                           // 000000005168: D1ED00C0 00D781C1
	v_perm_b32 v192, v194, v192, s54                           // 000000005170: D1ED00C0 00DB81C2
	v_perm_b32 v192, v195, v192, s55                           // 000000005178: D1ED00C0 00DF81C3
	v_mul_f32_e32 v196, v23, v196                              // 000000005180: 0B898917
	v_mul_f32_e32 v197, v23, v197                              // 000000005184: 0B8B8B17
	v_mul_f32_e32 v198, v23, v198                              // 000000005188: 0B8D8D17
	v_mul_f32_e32 v199, v23, v199                              // 00000000518C: 0B8F8F17
	v_cvt_i32_f32_e32 v196, v196                               // 000000005190: 7F8811C4
	v_cvt_i32_f32_e32 v197, v197                               // 000000005194: 7F8A11C5
	v_cvt_i32_f32_e32 v198, v198                               // 000000005198: 7F8C11C6
	v_cvt_i32_f32_e32 v199, v199                               // 00000000519C: 7F8E11C7
	v_perm_b32 v193, v197, v196, s53                           // 0000000051A0: D1ED00C1 00D789C5
	v_perm_b32 v193, v198, v193, s54                           // 0000000051A8: D1ED00C1 00DB83C6
	v_perm_b32 v193, v199, v193, s55                           // 0000000051B0: D1ED00C1 00DF83C7
	s_waitcnt vmcnt(40)                                        // 0000000051B8: BF8C8F78
	v_mfma_i32_16x16x32_i8 v[160:163], a[192:193], v[224:225], 0// 0000000051BC: D3D700A0 0A03C1C0
	v_mfma_i32_16x16x32_i8 v[160:163], a[194:195], v[226:227], v[160:163]// 0000000051C4: D3D700A0 0E83C5C2
	buffer_load_dwordx4 a[64:67], v40, s[24:27], 0 offen       // 0000000051CC: E05C1000 80864028
	v_mfma_i32_16x16x32_i8 v[160:163], a[196:197], v[228:229], v[160:163]// 0000000051D4: D3D700A0 0E83C9C4
	v_mfma_i32_16x16x32_i8 v[160:163], a[198:199], v[230:231], v[160:163]// 0000000051DC: D3D700A0 0E83CDC6
	s_add_u32 s60, 0x300, s80                                  // 0000000051E4: 803C50FF 00000300
	s_cmp_lt_u32 s60, s81                                      // 0000000051EC: BF0A513C
	s_cselect_b32 s57, s57, 0                                  // 0000000051F0: 85398039
	s_cselect_b32 s84, s84, 0                                  // 0000000051F4: 85548054
	v_mfma_i32_16x16x32_i8 v[160:163], a[200:201], v[232:233], v[160:163]// 0000000051F8: D3D700A0 0E83D1C8
	v_mfma_i32_16x16x32_i8 v[160:163], a[202:203], v[234:235], v[160:163]// 000000005200: D3D700A0 0E83D5CA
	buffer_load_dwordx4 a[68:71], v40, s[24:27], 0 offen offset:1024// 000000005208: E05C1400 80864428
	v_mfma_i32_16x16x32_i8 v[160:163], a[204:205], v[236:237], v[160:163]// 000000005210: D3D700A0 0E83D9CC
	v_mfma_i32_16x16x32_i8 v[160:163], a[206:207], v[238:239], v[160:163]// 000000005218: D3D700A0 0E83DDCE
	s_add_u32 s60, 0x200, s80                                  // 000000005220: 803C50FF 00000200
	s_cmp_lt_u32 s60, s81                                      // 000000005228: BF0A513C
	s_cselect_b32 s58, s58, 0                                  // 00000000522C: 853A803A
	v_mul_f32_e32 v200, v22, v200                              // 000000005230: 0B919116
	v_mul_f32_e32 v201, v22, v201                              // 000000005234: 0B939316
	v_mul_f32_e32 v202, v22, v202                              // 000000005238: 0B959516
	v_mul_f32_e32 v203, v22, v203                              // 00000000523C: 0B979716
	v_cvt_i32_f32_e32 v200, v200                               // 000000005240: 7F9011C8
	v_cvt_i32_f32_e32 v201, v201                               // 000000005244: 7F9211C9
	v_cvt_i32_f32_e32 v202, v202                               // 000000005248: 7F9411CA
	v_cvt_i32_f32_e32 v203, v203                               // 00000000524C: 7F9611CB
	v_perm_b32 v194, v201, v200, s53                           // 000000005250: D1ED00C2 00D791C9
	v_perm_b32 v194, v202, v194, s54                           // 000000005258: D1ED00C2 00DB85CA
	v_perm_b32 v194, v203, v194, s55                           // 000000005260: D1ED00C2 00DF85CB
	v_mul_f32_e32 v204, v23, v204                              // 000000005268: 0B999917
	v_mul_f32_e32 v205, v23, v205                              // 00000000526C: 0B9B9B17
	v_mul_f32_e32 v206, v23, v206                              // 000000005270: 0B9D9D17
	v_mul_f32_e32 v207, v23, v207                              // 000000005274: 0B9F9F17
	v_cvt_i32_f32_e32 v204, v204                               // 000000005278: 7F9811CC
	v_cvt_i32_f32_e32 v205, v205                               // 00000000527C: 7F9A11CD
	v_cvt_i32_f32_e32 v206, v206                               // 000000005280: 7F9C11CE
	v_cvt_i32_f32_e32 v207, v207                               // 000000005284: 7F9E11CF
	v_perm_b32 v195, v205, v204, s53                           // 000000005288: D1ED00C3 00D799CD
	v_perm_b32 v195, v206, v195, s54                           // 000000005290: D1ED00C3 00DB87CE
	v_perm_b32 v195, v207, v195, s55                           // 000000005298: D1ED00C3 00DF87CF
	v_mfma_i32_16x16x32_i8 v[164:167], a[192:193], v[240:241], 0// 0000000052A0: D3D700A4 0A03E1C0
	ds_write_b32 v12, v192 offset:2048                         // 0000000052A8: D81A0800 0000C00C
	v_mfma_i32_16x16x32_i8 v[164:167], a[194:195], v[242:243], v[164:167]// 0000000052B0: D3D700A4 0E93E5C2
	buffer_load_dwordx4 a[72:75], v40, s[24:27], 0 offen offset:2048// 0000000052B8: E05C1800 80864828
	v_mfma_i32_16x16x32_i8 v[164:167], a[196:197], v[244:245], v[164:167]// 0000000052C0: D3D700A4 0E93E9C4
	ds_write_b32 v12, v193 offset:6144                         // 0000000052C8: D81A1800 0000C10C
	v_mfma_i32_16x16x32_i8 v[164:167], a[198:199], v[246:247], v[164:167]// 0000000052D0: D3D700A4 0E93EDC6
	s_add_u32 s20, s57, s20                                    // 0000000052D8: 80141439
	s_addc_u32 s21, 0, s21                                     // 0000000052DC: 82151580
	v_mfma_i32_16x16x32_i8 v[164:167], a[200:201], v[248:249], v[164:167]// 0000000052E0: D3D700A4 0E93F1C8
	ds_write_b32 v12, v194 offset:3072                         // 0000000052E8: D81A0C00 0000C20C
	v_mfma_i32_16x16x32_i8 v[164:167], a[202:203], v[250:251], v[164:167]// 0000000052F0: D3D700A4 0E93F5CA
	buffer_load_dwordx4 a[76:79], v40, s[24:27], 0 offen offset:3072// 0000000052F8: E05C1C00 80864C28
	v_mfma_i32_16x16x32_i8 v[164:167], a[204:205], v[252:253], v[164:167]// 000000005300: D3D700A4 0E93F9CC
	ds_write_b32 v12, v195 offset:7168                         // 000000005308: D81A1C00 0000C30C
	v_mfma_i32_16x16x32_i8 v[164:167], a[206:207], v[254:255], v[164:167]// 000000005310: D3D700A4 0E93FDCE
	v_mul_f32_e32 v208, v22, v208                              // 000000005318: 0BA1A116
	v_mul_f32_e32 v209, v22, v209                              // 00000000531C: 0BA3A316
	v_mul_f32_e32 v210, v22, v210                              // 000000005320: 0BA5A516
	v_mul_f32_e32 v211, v22, v211                              // 000000005324: 0BA7A716
	v_cvt_i32_f32_e32 v208, v208                               // 000000005328: 7FA011D0
	v_cvt_i32_f32_e32 v209, v209                               // 00000000532C: 7FA211D1
	v_cvt_i32_f32_e32 v210, v210                               // 000000005330: 7FA411D2
	v_cvt_i32_f32_e32 v211, v211                               // 000000005334: 7FA611D3
	v_perm_b32 v196, v209, v208, s53                           // 000000005338: D1ED00C4 00D7A1D1
	v_perm_b32 v196, v210, v196, s54                           // 000000005340: D1ED00C4 00DB89D2
	v_perm_b32 v196, v211, v196, s55                           // 000000005348: D1ED00C4 00DF89D3
	v_mul_f32_e32 v212, v23, v212                              // 000000005350: 0BA9A917
	v_mul_f32_e32 v213, v23, v213                              // 000000005354: 0BABAB17
	v_mul_f32_e32 v214, v23, v214                              // 000000005358: 0BADAD17
	v_mul_f32_e32 v215, v23, v215                              // 00000000535C: 0BAFAF17
	v_cvt_i32_f32_e32 v212, v212                               // 000000005360: 7FA811D4
	v_cvt_i32_f32_e32 v213, v213                               // 000000005364: 7FAA11D5
	v_cvt_i32_f32_e32 v214, v214                               // 000000005368: 7FAC11D6
	v_cvt_i32_f32_e32 v215, v215                               // 00000000536C: 7FAE11D7
	v_perm_b32 v197, v213, v212, s53                           // 000000005370: D1ED00C5 00D7A9D5
	v_perm_b32 v197, v214, v197, s54                           // 000000005378: D1ED00C5 00DB8BD6
	v_perm_b32 v197, v215, v197, s55                           // 000000005380: D1ED00C5 00DF8BD7
	v_mfma_i32_16x16x32_i8 v[168:171], a[208:209], v[224:225], 0// 000000005388: D3D700A8 0A03C1D0
	v_mfma_i32_16x16x32_i8 v[168:171], a[210:211], v[226:227], v[168:171]// 000000005390: D3D700A8 0EA3C5D2
	buffer_load_dwordx4 a[80:83], v41, s[24:27], 0 offen       // 000000005398: E05C1000 80865029
	v_mfma_i32_16x16x32_i8 v[168:171], a[212:213], v[228:229], v[168:171]// 0000000053A0: D3D700A8 0EA3C9D4
	v_mfma_i32_16x16x32_i8 v[168:171], a[214:215], v[230:231], v[168:171]// 0000000053A8: D3D700A8 0EA3CDD6
	v_mfma_i32_16x16x32_i8 v[168:171], a[216:217], v[232:233], v[168:171]// 0000000053B0: D3D700A8 0EA3D1D8
	v_mfma_i32_16x16x32_i8 v[168:171], a[218:219], v[234:235], v[168:171]// 0000000053B8: D3D700A8 0EA3D5DA
	buffer_load_dwordx4 a[84:87], v41, s[24:27], 0 offen offset:1024// 0000000053C0: E05C1400 80865429
	v_mfma_i32_16x16x32_i8 v[168:171], a[220:221], v[236:237], v[168:171]// 0000000053C8: D3D700A8 0EA3D9DC
	v_mfma_i32_16x16x32_i8 v[168:171], a[222:223], v[238:239], v[168:171]// 0000000053D0: D3D700A8 0EA3DDDE
	v_mul_f32_e32 v216, v22, v216                              // 0000000053D8: 0BB1B116
	v_mul_f32_e32 v217, v22, v217                              // 0000000053DC: 0BB3B316
	v_mul_f32_e32 v218, v22, v218                              // 0000000053E0: 0BB5B516
	v_mul_f32_e32 v219, v22, v219                              // 0000000053E4: 0BB7B716
	v_cvt_i32_f32_e32 v216, v216                               // 0000000053E8: 7FB011D8
	v_cvt_i32_f32_e32 v217, v217                               // 0000000053EC: 7FB211D9
	v_cvt_i32_f32_e32 v218, v218                               // 0000000053F0: 7FB411DA
	v_cvt_i32_f32_e32 v219, v219                               // 0000000053F4: 7FB611DB
	v_perm_b32 v198, v217, v216, s53                           // 0000000053F8: D1ED00C6 00D7B1D9
	v_perm_b32 v198, v218, v198, s54                           // 000000005400: D1ED00C6 00DB8DDA
	v_perm_b32 v198, v219, v198, s55                           // 000000005408: D1ED00C6 00DF8DDB
	v_mul_f32_e32 v220, v23, v220                              // 000000005410: 0BB9B917
	v_mul_f32_e32 v221, v23, v221                              // 000000005414: 0BBBBB17
	v_mul_f32_e32 v222, v23, v222                              // 000000005418: 0BBDBD17
	v_mul_f32_e32 v223, v23, v223                              // 00000000541C: 0BBFBF17
	v_cvt_i32_f32_e32 v220, v220                               // 000000005420: 7FB811DC
	v_cvt_i32_f32_e32 v221, v221                               // 000000005424: 7FBA11DD
	v_cvt_i32_f32_e32 v222, v222                               // 000000005428: 7FBC11DE
	v_cvt_i32_f32_e32 v223, v223                               // 00000000542C: 7FBE11DF
	v_perm_b32 v199, v221, v220, s53                           // 000000005430: D1ED00C7 00D7B9DD
	v_perm_b32 v199, v222, v199, s54                           // 000000005438: D1ED00C7 00DB8FDE
	v_perm_b32 v199, v223, v199, s55                           // 000000005440: D1ED00C7 00DF8FDF
	v_mfma_i32_16x16x32_i8 v[172:175], a[208:209], v[240:241], 0// 000000005448: D3D700AC 0A03E1D0
	ds_write_b32 v12, v196 offset:4096                         // 000000005450: D81A1000 0000C40C
	v_mfma_i32_16x16x32_i8 v[172:175], a[210:211], v[242:243], v[172:175]// 000000005458: D3D700AC 0EB3E5D2
	buffer_load_dwordx4 a[88:91], v41, s[24:27], 0 offen offset:2048// 000000005460: E05C1800 80865829
	v_mfma_i32_16x16x32_i8 v[172:175], a[212:213], v[244:245], v[172:175]// 000000005468: D3D700AC 0EB3E9D4
	ds_write_b32 v12, v197 offset:8192                         // 000000005470: D81A2000 0000C50C
	v_mfma_i32_16x16x32_i8 v[172:175], a[214:215], v[246:247], v[172:175]// 000000005478: D3D700AC 0EB3EDD6
	v_mfma_i32_16x16x32_i8 v[172:175], a[216:217], v[248:249], v[172:175]// 000000005480: D3D700AC 0EB3F1D8
	ds_write_b32 v12, v198 offset:5120                         // 000000005488: D81A1400 0000C60C
	v_mfma_i32_16x16x32_i8 v[172:175], a[218:219], v[250:251], v[172:175]// 000000005490: D3D700AC 0EB3F5DA
	buffer_load_dwordx4 a[92:95], v41, s[24:27], 0 offen offset:3072// 000000005498: E05C1C00 80865C29
	v_mfma_i32_16x16x32_i8 v[172:175], a[220:221], v[252:253], v[172:175]// 0000000054A0: D3D700AC 0EB3F9DC
	ds_write_b32 v12, v199 offset:9216                         // 0000000054A8: D81A2400 0000C70C
	v_mfma_i32_16x16x32_i8 v[172:175], a[222:223], v[254:255], v[172:175]// 0000000054B0: D3D700AC 0EB3FDDE
	v_cvt_f32_i32_e32 v144, v144                               // 0000000054B8: 7F200B90
	v_cvt_f32_i32_e32 v145, v145                               // 0000000054BC: 7F220B91
	v_cvt_f32_i32_e32 v146, v146                               // 0000000054C0: 7F240B92
	v_cvt_f32_i32_e32 v147, v147                               // 0000000054C4: 7F260B93
	v_cvt_f32_i32_e32 v148, v148                               // 0000000054C8: 7F280B94
	v_cvt_f32_i32_e32 v149, v149                               // 0000000054CC: 7F2A0B95
	v_cvt_f32_i32_e32 v150, v150                               // 0000000054D0: 7F2C0B96
	v_cvt_f32_i32_e32 v151, v151                               // 0000000054D4: 7F2E0B97
	v_cvt_f32_i32_e32 v152, v152                               // 0000000054D8: 7F300B98
	v_cvt_f32_i32_e32 v153, v153                               // 0000000054DC: 7F320B99
	v_cvt_f32_i32_e32 v154, v154                               // 0000000054E0: 7F340B9A
	v_cvt_f32_i32_e32 v155, v155                               // 0000000054E4: 7F360B9B
	v_cvt_f32_i32_e32 v156, v156                               // 0000000054E8: 7F380B9C
	v_cvt_f32_i32_e32 v157, v157                               // 0000000054EC: 7F3A0B9D
	v_cvt_f32_i32_e32 v158, v158                               // 0000000054F0: 7F3C0B9E
	v_cvt_f32_i32_e32 v159, v159                               // 0000000054F4: 7F3E0B9F
	s_waitcnt lgkmcnt(0)                                       // 0000000054F8: BF8CC07F
	s_barrier                                                  // 0000000054FC: BF8A0000
	s_waitcnt vmcnt(40)                                        // 000000005500: BF8C8F78
	v_mfma_i32_16x16x32_i8 v[176:179], a[224:225], v[224:225], 0// 000000005504: D3D700B0 0A03C1E0
	ds_read_b64 v[192:193], v13 offset:2048                    // 00000000550C: D8EC0800 C000000D
	ds_read_b64 v[194:195], v13 offset:2176                    // 000000005514: D8EC0880 C200000D
	v_mfma_i32_16x16x32_i8 v[176:179], a[226:227], v[226:227], v[176:179]// 00000000551C: D3D700B0 0EC3C5E2
	buffer_load_dwordx4 a[96:99], v42, s[24:27], 0 offen       // 000000005524: E05C1000 8086602A
	v_mfma_i32_16x16x32_i8 v[176:179], a[228:229], v[228:229], v[176:179]// 00000000552C: D3D700B0 0EC3C9E4
	ds_read_b64 v[196:197], v13 offset:3072                    // 000000005534: D8EC0C00 C400000D
	ds_read_b64 v[198:199], v13 offset:3200                    // 00000000553C: D8EC0C80 C600000D
	v_mfma_i32_16x16x32_i8 v[176:179], a[230:231], v[230:231], v[176:179]// 000000005544: D3D700B0 0EC3CDE6
	v_mfma_i32_16x16x32_i8 v[176:179], a[232:233], v[232:233], v[176:179]// 00000000554C: D3D700B0 0EC3D1E8
	ds_read_b64 v[200:201], v13 offset:4096                    // 000000005554: D8EC1000 C800000D
	ds_read_b64 v[202:203], v13 offset:4224                    // 00000000555C: D8EC1080 CA00000D
	v_mfma_i32_16x16x32_i8 v[176:179], a[234:235], v[234:235], v[176:179]// 000000005564: D3D700B0 0EC3D5EA
	buffer_load_dwordx4 a[100:103], v42, s[24:27], 0 offen offset:1024// 00000000556C: E05C1400 8086642A
	v_mfma_i32_16x16x32_i8 v[176:179], a[236:237], v[236:237], v[176:179]// 000000005574: D3D700B0 0EC3D9EC
	ds_read_b64 v[204:205], v13 offset:5120                    // 00000000557C: D8EC1400 CC00000D
	ds_read_b64 v[206:207], v13 offset:5248                    // 000000005584: D8EC1480 CE00000D
	v_mfma_i32_16x16x32_i8 v[176:179], a[238:239], v[238:239], v[176:179]// 00000000558C: D3D700B0 0EC3DDEE
	v_cvt_f32_i32_e32 v160, v160                               // 000000005594: 7F400BA0
	v_cvt_f32_i32_e32 v161, v161                               // 000000005598: 7F420BA1
	v_cvt_f32_i32_e32 v162, v162                               // 00000000559C: 7F440BA2
	v_cvt_f32_i32_e32 v163, v163                               // 0000000055A0: 7F460BA3
	v_cvt_f32_i32_e32 v164, v164                               // 0000000055A4: 7F480BA4
	v_cvt_f32_i32_e32 v165, v165                               // 0000000055A8: 7F4A0BA5
	v_cvt_f32_i32_e32 v166, v166                               // 0000000055AC: 7F4C0BA6
	v_cvt_f32_i32_e32 v167, v167                               // 0000000055B0: 7F4E0BA7
	v_pk_fma_f32 v[80:81], v[26:27], v[144:145], v[80:81]      // 0000000055B4: D3B04050 1D43211A
	v_pk_fma_f32 v[82:83], v[26:27], v[146:147], v[82:83]      // 0000000055BC: D3B04052 1D4B251A
	v_pk_fma_f32 v[84:85], v[8:9], v[148:149], v[84:85]        // 0000000055C4: D3B04054 1D532908
	v_pk_fma_f32 v[86:87], v[8:9], v[150:151], v[86:87]        // 0000000055CC: D3B04056 1D5B2D08
	v_pk_fma_f32 v[88:89], v[26:27], v[152:153], v[88:89]      // 0000000055D4: D3B04058 1D63311A
	v_pk_fma_f32 v[90:91], v[26:27], v[154:155], v[90:91]      // 0000000055DC: D3B0405A 1D6B351A
	v_pk_fma_f32 v[92:93], v[8:9], v[156:157], v[92:93]        // 0000000055E4: D3B0405C 1D733908
	v_pk_fma_f32 v[94:95], v[8:9], v[158:159], v[94:95]        // 0000000055EC: D3B0405E 1D7B3D08
	v_mfma_i32_16x16x32_i8 v[180:183], a[224:225], v[240:241], 0// 0000000055F4: D3D700B4 0A03E1E0
	ds_read_b64 v[208:209], v13 offset:6144                    // 0000000055FC: D8EC1800 D000000D
	ds_read_b64 v[210:211], v13 offset:6272                    // 000000005604: D8EC1880 D200000D
	v_mfma_i32_16x16x32_i8 v[180:183], a[226:227], v[242:243], v[180:183]// 00000000560C: D3D700B4 0ED3E5E2
	buffer_load_dwordx4 a[104:107], v42, s[24:27], 0 offen offset:2048// 000000005614: E05C1800 8086682A
	v_mfma_i32_16x16x32_i8 v[180:183], a[228:229], v[244:245], v[180:183]// 00000000561C: D3D700B4 0ED3E9E4
	ds_read_b64 v[212:213], v13 offset:7168                    // 000000005624: D8EC1C00 D400000D
	ds_read_b64 v[214:215], v13 offset:7296                    // 00000000562C: D8EC1C80 D600000D
	v_mfma_i32_16x16x32_i8 v[180:183], a[230:231], v[246:247], v[180:183]// 000000005634: D3D700B4 0ED3EDE6
	v_mfma_i32_16x16x32_i8 v[180:183], a[232:233], v[248:249], v[180:183]// 00000000563C: D3D700B4 0ED3F1E8
	ds_read_b64 v[216:217], v13 offset:8192                    // 000000005644: D8EC2000 D800000D
	ds_read_b64 v[218:219], v13 offset:8320                    // 00000000564C: D8EC2080 DA00000D
	v_mfma_i32_16x16x32_i8 v[180:183], a[234:235], v[250:251], v[180:183]// 000000005654: D3D700B4 0ED3F5EA
	buffer_load_dwordx4 a[108:111], v42, s[24:27], 0 offen offset:3072// 00000000565C: E05C1C00 80866C2A
	v_mfma_i32_16x16x32_i8 v[180:183], a[236:237], v[252:253], v[180:183]// 000000005664: D3D700B4 0ED3F9EC
	ds_read_b64 v[220:221], v13 offset:9216                    // 00000000566C: D8EC2400 DC00000D
	ds_read_b64 v[222:223], v13 offset:9344                    // 000000005674: D8EC2480 DE00000D
	v_mfma_i32_16x16x32_i8 v[180:183], a[238:239], v[254:255], v[180:183]// 00000000567C: D3D700B4 0ED3FDEE
	v_cvt_f32_i32_e32 v168, v168                               // 000000005684: 7F500BA8
	v_cvt_f32_i32_e32 v169, v169                               // 000000005688: 7F520BA9
	v_cvt_f32_i32_e32 v170, v170                               // 00000000568C: 7F540BAA
	v_cvt_f32_i32_e32 v171, v171                               // 000000005690: 7F560BAB
	v_cvt_f32_i32_e32 v172, v172                               // 000000005694: 7F580BAC
	v_cvt_f32_i32_e32 v173, v173                               // 000000005698: 7F5A0BAD
	v_cvt_f32_i32_e32 v174, v174                               // 00000000569C: 7F5C0BAE
	v_cvt_f32_i32_e32 v175, v175                               // 0000000056A0: 7F5E0BAF
	v_pk_fma_f32 v[96:97], v[26:27], v[160:161], v[96:97]      // 0000000056A4: D3B04060 1D83411A
	v_pk_fma_f32 v[98:99], v[26:27], v[162:163], v[98:99]      // 0000000056AC: D3B04062 1D8B451A
	v_pk_fma_f32 v[100:101], v[8:9], v[164:165], v[100:101]    // 0000000056B4: D3B04064 1D934908
	v_pk_fma_f32 v[102:103], v[8:9], v[166:167], v[102:103]    // 0000000056BC: D3B04066 1D9B4D08
	v_pk_fma_f32 v[104:105], v[26:27], v[168:169], v[104:105]  // 0000000056C4: D3B04068 1DA3511A
	v_pk_fma_f32 v[106:107], v[26:27], v[170:171], v[106:107]  // 0000000056CC: D3B0406A 1DAB551A
	v_pk_fma_f32 v[108:109], v[8:9], v[172:173], v[108:109]    // 0000000056D4: D3B0406C 1DB35908
	v_pk_fma_f32 v[110:111], v[8:9], v[174:175], v[110:111]    // 0000000056DC: D3B0406E 1DBB5D08
	v_mfma_i32_16x16x32_i8 v[184:187], a[240:241], v[224:225], 0// 0000000056E4: D3D700B8 0A03C1F0
	v_mfma_i32_16x16x32_i8 v[184:187], a[242:243], v[226:227], v[184:187]// 0000000056EC: D3D700B8 0EE3C5F2
	buffer_load_dwordx4 a[112:115], v43, s[24:27], 0 offen     // 0000000056F4: E05C1000 8086702B
	v_mfma_i32_16x16x32_i8 v[184:187], a[244:245], v[228:229], v[184:187]// 0000000056FC: D3D700B8 0EE3C9F4
	v_mfma_i32_16x16x32_i8 v[184:187], a[246:247], v[230:231], v[184:187]// 000000005704: D3D700B8 0EE3CDF6
	v_mfma_i32_16x16x32_i8 v[184:187], a[248:249], v[232:233], v[184:187]// 00000000570C: D3D700B8 0EE3D1F8
	v_mfma_i32_16x16x32_i8 v[184:187], a[250:251], v[234:235], v[184:187]// 000000005714: D3D700B8 0EE3D5FA
	buffer_load_dwordx4 a[116:119], v43, s[24:27], 0 offen offset:1024// 00000000571C: E05C1400 8086742B
	v_mfma_i32_16x16x32_i8 v[184:187], a[252:253], v[236:237], v[184:187]// 000000005724: D3D700B8 0EE3D9FC
	v_mfma_i32_16x16x32_i8 v[184:187], a[254:255], v[238:239], v[184:187]// 00000000572C: D3D700B8 0EE3DDFE
	v_mfma_i32_16x16x32_i8 v[188:191], a[240:241], v[240:241], 0// 000000005734: D3D700BC 0A03E1F0
	v_mfma_i32_16x16x32_i8 v[188:191], a[242:243], v[242:243], v[188:191]// 00000000573C: D3D700BC 0EF3E5F2
	buffer_load_dwordx4 a[120:123], v43, s[24:27], 0 offen offset:2048// 000000005744: E05C1800 8086782B
	v_mfma_i32_16x16x32_i8 v[188:191], a[244:245], v[244:245], v[188:191]// 00000000574C: D3D700BC 0EF3E9F4
	v_mfma_i32_16x16x32_i8 v[188:191], a[246:247], v[246:247], v[188:191]// 000000005754: D3D700BC 0EF3EDF6
	v_mfma_i32_16x16x32_i8 v[188:191], a[248:249], v[248:249], v[188:191]// 00000000575C: D3D700BC 0EF3F1F8
	v_mfma_i32_16x16x32_i8 v[188:191], a[250:251], v[250:251], v[188:191]// 000000005764: D3D700BC 0EF3F5FA
	buffer_load_dwordx4 a[124:127], v43, s[24:27], 0 offen offset:3072// 00000000576C: E05C1C00 80867C2B
	v_mfma_i32_16x16x32_i8 v[188:191], a[252:253], v[252:253], v[188:191]// 000000005774: D3D700BC 0EF3F9FC
	v_mfma_i32_16x16x32_i8 v[188:191], a[254:255], v[254:255], v[188:191]// 00000000577C: D3D700BC 0EF3FDFE
	s_add_u32 s24, s58, s24                                    // 000000005784: 8018183A
	s_addc_u32 s25, 0, s25                                     // 000000005788: 82191980
	s_add_u32 s28, s84, s28                                    // 00000000578C: 801C1C54
	s_addc_u32 s29, 0, s29                                     // 000000005790: 821D1D80
	v_cvt_f32_i32_e32 v176, v176                               // 000000005794: 7F600BB0
	v_cvt_f32_i32_e32 v177, v177                               // 000000005798: 7F620BB1
	v_cvt_f32_i32_e32 v178, v178                               // 00000000579C: 7F640BB2
	v_cvt_f32_i32_e32 v179, v179                               // 0000000057A0: 7F660BB3
	v_cvt_f32_i32_e32 v180, v180                               // 0000000057A4: 7F680BB4
	v_cvt_f32_i32_e32 v181, v181                               // 0000000057A8: 7F6A0BB5
	v_cvt_f32_i32_e32 v182, v182                               // 0000000057AC: 7F6C0BB6
	v_cvt_f32_i32_e32 v183, v183                               // 0000000057B0: 7F6E0BB7
	v_cvt_f32_i32_e32 v184, v184                               // 0000000057B4: 7F700BB8
	v_cvt_f32_i32_e32 v185, v185                               // 0000000057B8: 7F720BB9
	v_cvt_f32_i32_e32 v186, v186                               // 0000000057BC: 7F740BBA
	v_cvt_f32_i32_e32 v187, v187                               // 0000000057C0: 7F760BBB
	v_cvt_f32_i32_e32 v188, v188                               // 0000000057C4: 7F780BBC
	v_cvt_f32_i32_e32 v189, v189                               // 0000000057C8: 7F7A0BBD
	v_cvt_f32_i32_e32 v190, v190                               // 0000000057CC: 7F7C0BBE
	v_cvt_f32_i32_e32 v191, v191                               // 0000000057D0: 7F7E0BBF
	v_pk_fma_f32 v[112:113], v[26:27], v[176:177], v[112:113]  // 0000000057D4: D3B04070 1DC3611A
	v_pk_fma_f32 v[114:115], v[26:27], v[178:179], v[114:115]  // 0000000057DC: D3B04072 1DCB651A
	v_pk_fma_f32 v[116:117], v[8:9], v[180:181], v[116:117]    // 0000000057E4: D3B04074 1DD36908
	v_pk_fma_f32 v[118:119], v[8:9], v[182:183], v[118:119]    // 0000000057EC: D3B04076 1DDB6D08
	v_pk_fma_f32 v[120:121], v[26:27], v[184:185], v[120:121]  // 0000000057F4: D3B04078 1DE3711A
	v_pk_fma_f32 v[122:123], v[26:27], v[186:187], v[122:123]  // 0000000057FC: D3B0407A 1DEB751A
	v_pk_fma_f32 v[124:125], v[8:9], v[188:189], v[124:125]    // 000000005804: D3B0407C 1DF37908
	v_pk_fma_f32 v[126:127], v[8:9], v[190:191], v[126:127]    // 00000000580C: D3B0407E 1DFB7D08
	s_addk_i32 s80, 0x100                                      // 000000005814: B7500100
	s_cmp_lt_i32 s80, s81                                      // 000000005818: BF045150
	s_cbranch_scc0 label_0B49                                  // 00000000581C: BF840001
	s_branch label_03FC                                        // 000000005820: BF82F8B3

0000000000005824 <label_0B49>:
	s_mov_b32 s20, 0                                           // 000000005824: BE940080
	s_cmp_lt_u32 s93, s66                                      // 000000005828: BF0A425D
	s_cselect_b32 s60, 0, 1                                    // 00000000582C: 853C8180
	s_lshl1_add_u32 s20, s20, s60                              // 000000005830: 97143C14
	s_cmp_lt_u32 s92, s66                                      // 000000005834: BF0A425C
	s_cselect_b32 s60, 0, 1                                    // 000000005838: 853C8180
	s_lshl1_add_u32 s20, s20, s60                              // 00000000583C: 97143C14
	s_cmp_lt_u32 s91, s66                                      // 000000005840: BF0A425B
	s_cselect_b32 s60, 0, 1                                    // 000000005844: 853C8180
	s_lshl1_add_u32 s20, s20, s60                              // 000000005848: 97143C14
	s_cmp_lt_u32 s90, s66                                      // 00000000584C: BF0A425A
	s_cselect_b32 s60, 0, 1                                    // 000000005850: 853C8180
	s_lshl1_add_u32 s20, s20, s60                              // 000000005854: 97143C14
	s_cmp_lt_u32 s89, s66                                      // 000000005858: BF0A4259
	s_cselect_b32 s60, 0, 1                                    // 00000000585C: 853C8180
	s_lshl1_add_u32 s20, s20, s60                              // 000000005860: 97143C14
	s_cmp_lt_u32 s88, s66                                      // 000000005864: BF0A4258
	s_cselect_b32 s60, 0, 1                                    // 000000005868: 853C8180
	s_lshl1_add_u32 s20, s20, s60                              // 00000000586C: 97143C14
	s_cmp_lt_u32 s87, s66                                      // 000000005870: BF0A4257
	s_cselect_b32 s60, 0, 1                                    // 000000005874: 853C8180
	s_lshl1_add_u32 s20, s20, s60                              // 000000005878: 97143C14
	s_cmp_lt_u32 s86, s66                                      // 00000000587C: BF0A4256
	s_cselect_b32 s60, 0, 1                                    // 000000005880: 853C8180
	s_lshl1_add_u32 s20, s20, s60                              // 000000005884: 97143C14
	v_mov_b32_e32 v60, 0xbfcc4231                              // 000000005888: 7E7802FF BFCC4231
	v_mov_b32_e32 v61, 0xbfcc4231                              // 000000005890: 7E7A02FF BFCC4231
	v_mov_b32_e32 v57, 0xffff0000                              // 000000005898: 7E7202FF FFFF0000
	v_mov_b32_e32 v58, 0x7fff0000                              // 0000000058A0: 7E7402FF 7FFF0000
	v_mov_b32_e32 v59, 0x7fff                                  // 0000000058A8: 7E7602FF 00007FFF
	s_mul_i32 s60, s5, 16                                      // 0000000058B0: 923C9005
	s_mul_i32 s60, s60, s70                                    // 0000000058B4: 923C463C
	v_lshlrev_b32_e32 v48, 4, v0                               // 0000000058B8: 24600084
	v_add_u32_e32 v48, s60, v48                                // 0000000058BC: 6860603C
	s_mul_i32 s60, 64, s70                                     // 0000000058C0: 923C46C0
	v_add_u32_e32 v49, s60, v48                                // 0000000058C4: 6862603C
	v_add_u32_e32 v50, s60, v49                                // 0000000058C8: 6864623C
	v_add_u32_e32 v51, s60, v50                                // 0000000058CC: 6866643C
	v_lshrrev_b32_e32 v44, 4, v0                               // 0000000058D0: 20580084
	v_mul_i32_i24_e32 v3, 34, v44                              // 0000000058D4: 0C0658A2
	v_and_b32_e32 v44, 15, v0                                  // 0000000058D8: 2658008F
	v_mul_i32_i24_e32 v45, 2, v44                              // 0000000058DC: 0C5A5882
	v_add_u32_e32 v3, v45, v3                                  // 0000000058E0: 6806072D
	s_mul_i32 s60, s5, 0x88                                    // 0000000058E4: 923CFF05 00000088
	v_add_u32_e32 v3, s60, v3                                  // 0000000058EC: 6806063C
	v_lshlrev_b32_e32 v3, 2, v3                                // 0000000058F0: 24060682
	v_lshrrev_b32_e32 v44, 1, v0                               // 0000000058F4: 20580081
	v_mul_i32_i24_e32 v4, 34, v44                              // 0000000058F8: 0C0858A2
	v_and_b32_e32 v45, 1, v0                                   // 0000000058FC: 265A0081
	v_add_u32_e32 v4, v45, v4                                  // 000000005900: 6808092D
	s_mul_i32 s60, s5, 2                                       // 000000005904: 923C8205
	v_add_u32_e32 v4, s60, v4                                  // 000000005908: 6808083C
	v_lshlrev_b32_e32 v4, 2, v4                                // 00000000590C: 24080882
	v_mul_f32_dpp v128, v16, v64 row_newbcast:0 row_mask:0xf bank_mask:0xf// 000000005910: 0B0080FA FF015010
	v_mul_f32_dpp v129, v16, v65 row_newbcast:1 row_mask:0xf bank_mask:0xf// 000000005918: 0B0282FA FF015110
	v_mul_f32_dpp v130, v16, v66 row_newbcast:2 row_mask:0xf bank_mask:0xf// 000000005920: 0B0484FA FF015210
	v_mul_f32_dpp v131, v16, v67 row_newbcast:3 row_mask:0xf bank_mask:0xf// 000000005928: 0B0686FA FF015310
	v_mul_f32_dpp v132, v16, v68 row_newbcast:0 row_mask:0xf bank_mask:0xf// 000000005930: 0B0888FA FF015010
	v_mul_f32_dpp v133, v16, v69 row_newbcast:1 row_mask:0xf bank_mask:0xf// 000000005938: 0B0A8AFA FF015110
	v_mul_f32_dpp v134, v16, v70 row_newbcast:2 row_mask:0xf bank_mask:0xf// 000000005940: 0B0C8CFA FF015210
	v_mul_f32_dpp v135, v16, v71 row_newbcast:3 row_mask:0xf bank_mask:0xf// 000000005948: 0B0E8EFA FF015310
	v_mul_f32_dpp v136, v16, v72 row_newbcast:4 row_mask:0xf bank_mask:0xf// 000000005950: 0B1090FA FF015410
	v_mul_f32_dpp v137, v16, v73 row_newbcast:5 row_mask:0xf bank_mask:0xf// 000000005958: 0B1292FA FF015510
	v_mul_f32_dpp v138, v16, v74 row_newbcast:6 row_mask:0xf bank_mask:0xf// 000000005960: 0B1494FA FF015610
	v_mul_f32_dpp v139, v16, v75 row_newbcast:7 row_mask:0xf bank_mask:0xf// 000000005968: 0B1696FA FF015710
	v_mul_f32_dpp v140, v16, v76 row_newbcast:4 row_mask:0xf bank_mask:0xf// 000000005970: 0B1898FA FF015410
	v_mul_f32_dpp v141, v16, v77 row_newbcast:5 row_mask:0xf bank_mask:0xf// 000000005978: 0B1A9AFA FF015510
	v_mul_f32_dpp v142, v16, v78 row_newbcast:6 row_mask:0xf bank_mask:0xf// 000000005980: 0B1C9CFA FF015610
	v_mul_f32_dpp v143, v16, v79 row_newbcast:7 row_mask:0xf bank_mask:0xf// 000000005988: 0B1E9EFA FF015710
	v_mul_f32_dpp v144, v16, v80 row_newbcast:8 row_mask:0xf bank_mask:0xf// 000000005990: 0B20A0FA FF015810
	v_mul_f32_dpp v145, v16, v81 row_newbcast:9 row_mask:0xf bank_mask:0xf// 000000005998: 0B22A2FA FF015910
	v_mul_f32_dpp v146, v16, v82 row_newbcast:10 row_mask:0xf bank_mask:0xf// 0000000059A0: 0B24A4FA FF015A10
	v_mul_f32_dpp v147, v16, v83 row_newbcast:11 row_mask:0xf bank_mask:0xf// 0000000059A8: 0B26A6FA FF015B10
	v_mul_f32_dpp v148, v16, v84 row_newbcast:8 row_mask:0xf bank_mask:0xf// 0000000059B0: 0B28A8FA FF015810
	v_mul_f32_dpp v149, v16, v85 row_newbcast:9 row_mask:0xf bank_mask:0xf// 0000000059B8: 0B2AAAFA FF015910
	v_mul_f32_dpp v150, v16, v86 row_newbcast:10 row_mask:0xf bank_mask:0xf// 0000000059C0: 0B2CACFA FF015A10
	v_mul_f32_dpp v151, v16, v87 row_newbcast:11 row_mask:0xf bank_mask:0xf// 0000000059C8: 0B2EAEFA FF015B10
	v_mul_f32_dpp v152, v16, v88 row_newbcast:12 row_mask:0xf bank_mask:0xf// 0000000059D0: 0B30B0FA FF015C10
	v_mul_f32_dpp v153, v16, v89 row_newbcast:13 row_mask:0xf bank_mask:0xf// 0000000059D8: 0B32B2FA FF015D10
	v_mul_f32_dpp v154, v16, v90 row_newbcast:14 row_mask:0xf bank_mask:0xf// 0000000059E0: 0B34B4FA FF015E10
	v_mul_f32_dpp v155, v16, v91 row_newbcast:15 row_mask:0xf bank_mask:0xf// 0000000059E8: 0B36B6FA FF015F10
	v_mul_f32_dpp v156, v16, v92 row_newbcast:12 row_mask:0xf bank_mask:0xf// 0000000059F0: 0B38B8FA FF015C10
	v_mul_f32_dpp v157, v16, v93 row_newbcast:13 row_mask:0xf bank_mask:0xf// 0000000059F8: 0B3ABAFA FF015D10
	v_mul_f32_dpp v158, v16, v94 row_newbcast:14 row_mask:0xf bank_mask:0xf// 000000005A00: 0B3CBCFA FF015E10
	v_mul_f32_dpp v159, v16, v95 row_newbcast:15 row_mask:0xf bank_mask:0xf// 000000005A08: 0B3EBEFA FF015F10
	v_mul_f32_dpp v160, v17, v96 row_newbcast:0 row_mask:0xf bank_mask:0xf// 000000005A10: 0B40C0FA FF015011
	v_mul_f32_dpp v161, v17, v97 row_newbcast:1 row_mask:0xf bank_mask:0xf// 000000005A18: 0B42C2FA FF015111
	v_mul_f32_dpp v162, v17, v98 row_newbcast:2 row_mask:0xf bank_mask:0xf// 000000005A20: 0B44C4FA FF015211
	v_mul_f32_dpp v163, v17, v99 row_newbcast:3 row_mask:0xf bank_mask:0xf// 000000005A28: 0B46C6FA FF015311
	v_mul_f32_dpp v164, v17, v100 row_newbcast:0 row_mask:0xf bank_mask:0xf// 000000005A30: 0B48C8FA FF015011
	v_mul_f32_dpp v165, v17, v101 row_newbcast:1 row_mask:0xf bank_mask:0xf// 000000005A38: 0B4ACAFA FF015111
	v_mul_f32_dpp v166, v17, v102 row_newbcast:2 row_mask:0xf bank_mask:0xf// 000000005A40: 0B4CCCFA FF015211
	v_mul_f32_dpp v167, v17, v103 row_newbcast:3 row_mask:0xf bank_mask:0xf// 000000005A48: 0B4ECEFA FF015311
	v_mul_f32_dpp v168, v17, v104 row_newbcast:4 row_mask:0xf bank_mask:0xf// 000000005A50: 0B50D0FA FF015411
	v_mul_f32_dpp v169, v17, v105 row_newbcast:5 row_mask:0xf bank_mask:0xf// 000000005A58: 0B52D2FA FF015511
	v_mul_f32_dpp v170, v17, v106 row_newbcast:6 row_mask:0xf bank_mask:0xf// 000000005A60: 0B54D4FA FF015611
	v_mul_f32_dpp v171, v17, v107 row_newbcast:7 row_mask:0xf bank_mask:0xf// 000000005A68: 0B56D6FA FF015711
	v_mul_f32_dpp v172, v17, v108 row_newbcast:4 row_mask:0xf bank_mask:0xf// 000000005A70: 0B58D8FA FF015411
	v_mul_f32_dpp v173, v17, v109 row_newbcast:5 row_mask:0xf bank_mask:0xf// 000000005A78: 0B5ADAFA FF015511
	v_mul_f32_dpp v174, v17, v110 row_newbcast:6 row_mask:0xf bank_mask:0xf// 000000005A80: 0B5CDCFA FF015611
	v_mul_f32_dpp v175, v17, v111 row_newbcast:7 row_mask:0xf bank_mask:0xf// 000000005A88: 0B5EDEFA FF015711
	v_mul_f32_dpp v176, v17, v112 row_newbcast:8 row_mask:0xf bank_mask:0xf// 000000005A90: 0B60E0FA FF015811
	v_mul_f32_dpp v177, v17, v113 row_newbcast:9 row_mask:0xf bank_mask:0xf// 000000005A98: 0B62E2FA FF015911
	v_mul_f32_dpp v178, v17, v114 row_newbcast:10 row_mask:0xf bank_mask:0xf// 000000005AA0: 0B64E4FA FF015A11
	v_mul_f32_dpp v179, v17, v115 row_newbcast:11 row_mask:0xf bank_mask:0xf// 000000005AA8: 0B66E6FA FF015B11
	v_mul_f32_dpp v180, v17, v116 row_newbcast:8 row_mask:0xf bank_mask:0xf// 000000005AB0: 0B68E8FA FF015811
	v_mul_f32_dpp v181, v17, v117 row_newbcast:9 row_mask:0xf bank_mask:0xf// 000000005AB8: 0B6AEAFA FF015911
	v_mul_f32_dpp v182, v17, v118 row_newbcast:10 row_mask:0xf bank_mask:0xf// 000000005AC0: 0B6CECFA FF015A11
	v_mul_f32_dpp v183, v17, v119 row_newbcast:11 row_mask:0xf bank_mask:0xf// 000000005AC8: 0B6EEEFA FF015B11
	v_mul_f32_dpp v184, v17, v120 row_newbcast:12 row_mask:0xf bank_mask:0xf// 000000005AD0: 0B70F0FA FF015C11
	v_mul_f32_dpp v185, v17, v121 row_newbcast:13 row_mask:0xf bank_mask:0xf// 000000005AD8: 0B72F2FA FF015D11
	v_mul_f32_dpp v186, v17, v122 row_newbcast:14 row_mask:0xf bank_mask:0xf// 000000005AE0: 0B74F4FA FF015E11
	v_mul_f32_dpp v187, v17, v123 row_newbcast:15 row_mask:0xf bank_mask:0xf// 000000005AE8: 0B76F6FA FF015F11
	v_mul_f32_dpp v188, v17, v124 row_newbcast:12 row_mask:0xf bank_mask:0xf// 000000005AF0: 0B78F8FA FF015C11
	v_mul_f32_dpp v189, v17, v125 row_newbcast:13 row_mask:0xf bank_mask:0xf// 000000005AF8: 0B7AFAFA FF015D11
	v_mul_f32_dpp v190, v17, v126 row_newbcast:14 row_mask:0xf bank_mask:0xf// 000000005B00: 0B7CFCFA FF015E11
	v_mul_f32_dpp v191, v17, v127 row_newbcast:15 row_mask:0xf bank_mask:0xf// 000000005B08: 0B7EFEFA FF015F11
	s_waitcnt vmcnt(24)                                        // 000000005B10: BF8C4F78
	buffer_load_dwordx4 a[0:3], v48, s[12:15], 0 offen         // 000000005B14: E05C1000 80830030
	v_pk_mul_f32 v[44:45], v[128:129], v[128:129]              // 000000005B1C: D3B1402C 18030180
	v_pk_mul_f32 v[46:47], v[130:131], v[130:131]              // 000000005B24: D3B1402E 18030582
	v_pk_fma_f32 v[44:45], v[44:45], s[82:83], v[60:61]        // 000000005B2C: D3B0402C 1CF0A52C
	v_pk_fma_f32 v[46:47], v[46:47], s[82:83], v[60:61]        // 000000005B34: D3B0402E 1CF0A52E
	v_pk_mul_f32 v[44:45], v[44:45], v[128:129]                // 000000005B3C: D3B1402C 1803012C
	v_pk_mul_f32 v[46:47], v[46:47], v[130:131]                // 000000005B44: D3B1402E 1803052E
	v_pk_mul_f32 v[44:45], v[44:45], s[6:7]                    // 000000005B4C: D3B1402C 18000D2C
	v_pk_mul_f32 v[46:47], v[46:47], s[6:7]                    // 000000005B54: D3B1402E 18000D2E
	v_exp_f32_e32 v44, v44                                     // 000000005B5C: 7E58412C
	v_exp_f32_e32 v45, v45                                     // 000000005B60: 7E5A412D
	v_exp_f32_e32 v46, v46                                     // 000000005B64: 7E5C412E
	v_exp_f32_e32 v47, v47                                     // 000000005B68: 7E5E412F
	buffer_load_dwordx4 a[4:7], v48, s[12:15], 0 offen offset:1024// 000000005B6C: E05C1400 80830430
	v_add_f32_e64 v44, v44, 1.0                                // 000000005B74: D101002C 0001E52C
	v_add_f32_e64 v45, v45, 1.0                                // 000000005B7C: D101002D 0001E52D
	v_add_f32_e64 v46, v46, 1.0                                // 000000005B84: D101002E 0001E52E
	v_add_f32_e64 v47, v47, 1.0                                // 000000005B8C: D101002F 0001E52F
	v_rcp_f32_e32 v44, v44                                     // 000000005B94: 7E58452C
	v_rcp_f32_e32 v45, v45                                     // 000000005B98: 7E5A452D
	v_rcp_f32_e32 v46, v46                                     // 000000005B9C: 7E5C452E
	v_rcp_f32_e32 v47, v47                                     // 000000005BA0: 7E5E452F
	v_pk_mul_f32 v[128:129], v[128:129], v[44:45]              // 000000005BA4: D3B14080 18025980
	v_pk_mul_f32 v[130:131], v[130:131], v[46:47]              // 000000005BAC: D3B14082 18025D82
	buffer_load_dwordx4 a[8:11], v48, s[12:15], 0 offen offset:2048// 000000005BB4: E05C1800 80830830
	v_pk_mul_f32 v[44:45], v[132:133], v[132:133]              // 000000005BBC: D3B1402C 18030984
	v_pk_mul_f32 v[46:47], v[134:135], v[134:135]              // 000000005BC4: D3B1402E 18030D86
	v_pk_fma_f32 v[44:45], v[44:45], s[82:83], v[60:61]        // 000000005BCC: D3B0402C 1CF0A52C
	v_pk_fma_f32 v[46:47], v[46:47], s[82:83], v[60:61]        // 000000005BD4: D3B0402E 1CF0A52E
	v_pk_mul_f32 v[44:45], v[44:45], v[132:133]                // 000000005BDC: D3B1402C 1803092C
	v_pk_mul_f32 v[46:47], v[46:47], v[134:135]                // 000000005BE4: D3B1402E 18030D2E
	v_pk_mul_f32 v[44:45], v[44:45], s[6:7]                    // 000000005BEC: D3B1402C 18000D2C
	v_pk_mul_f32 v[46:47], v[46:47], s[6:7]                    // 000000005BF4: D3B1402E 18000D2E
	v_exp_f32_e32 v44, v44                                     // 000000005BFC: 7E58412C
	v_exp_f32_e32 v45, v45                                     // 000000005C00: 7E5A412D
	v_exp_f32_e32 v46, v46                                     // 000000005C04: 7E5C412E
	v_exp_f32_e32 v47, v47                                     // 000000005C08: 7E5E412F
	buffer_load_dwordx4 a[12:15], v48, s[12:15], 0 offen offset:3072// 000000005C0C: E05C1C00 80830C30
	v_add_f32_e64 v44, v44, 1.0                                // 000000005C14: D101002C 0001E52C
	v_add_f32_e64 v45, v45, 1.0                                // 000000005C1C: D101002D 0001E52D
	v_add_f32_e64 v46, v46, 1.0                                // 000000005C24: D101002E 0001E52E
	v_add_f32_e64 v47, v47, 1.0                                // 000000005C2C: D101002F 0001E52F
	v_rcp_f32_e32 v44, v44                                     // 000000005C34: 7E58452C
	v_rcp_f32_e32 v45, v45                                     // 000000005C38: 7E5A452D
	v_rcp_f32_e32 v46, v46                                     // 000000005C3C: 7E5C452E
	v_rcp_f32_e32 v47, v47                                     // 000000005C40: 7E5E452F
	v_pk_mul_f32 v[132:133], v[132:133], v[44:45]              // 000000005C44: D3B14084 18025984
	v_pk_mul_f32 v[134:135], v[134:135], v[46:47]              // 000000005C4C: D3B14086 18025D86
	buffer_load_dwordx4 a[16:19], v49, s[12:15], 0 offen       // 000000005C54: E05C1000 80831031
	v_pk_mul_f32 v[44:45], v[136:137], v[136:137]              // 000000005C5C: D3B1402C 18031188
	v_pk_mul_f32 v[46:47], v[138:139], v[138:139]              // 000000005C64: D3B1402E 1803158A
	v_pk_fma_f32 v[44:45], v[44:45], s[82:83], v[60:61]        // 000000005C6C: D3B0402C 1CF0A52C
	v_pk_fma_f32 v[46:47], v[46:47], s[82:83], v[60:61]        // 000000005C74: D3B0402E 1CF0A52E
	v_pk_mul_f32 v[44:45], v[44:45], v[136:137]                // 000000005C7C: D3B1402C 1803112C
	v_pk_mul_f32 v[46:47], v[46:47], v[138:139]                // 000000005C84: D3B1402E 1803152E
	v_pk_mul_f32 v[44:45], v[44:45], s[6:7]                    // 000000005C8C: D3B1402C 18000D2C
	v_pk_mul_f32 v[46:47], v[46:47], s[6:7]                    // 000000005C94: D3B1402E 18000D2E
	v_exp_f32_e32 v44, v44                                     // 000000005C9C: 7E58412C
	v_exp_f32_e32 v45, v45                                     // 000000005CA0: 7E5A412D
	v_exp_f32_e32 v46, v46                                     // 000000005CA4: 7E5C412E
	v_exp_f32_e32 v47, v47                                     // 000000005CA8: 7E5E412F
	buffer_load_dwordx4 a[20:23], v49, s[12:15], 0 offen offset:1024// 000000005CAC: E05C1400 80831431
	v_add_f32_e64 v44, v44, 1.0                                // 000000005CB4: D101002C 0001E52C
	v_add_f32_e64 v45, v45, 1.0                                // 000000005CBC: D101002D 0001E52D
	v_add_f32_e64 v46, v46, 1.0                                // 000000005CC4: D101002E 0001E52E
	v_add_f32_e64 v47, v47, 1.0                                // 000000005CCC: D101002F 0001E52F
	v_rcp_f32_e32 v44, v44                                     // 000000005CD4: 7E58452C
	v_rcp_f32_e32 v45, v45                                     // 000000005CD8: 7E5A452D
	v_rcp_f32_e32 v46, v46                                     // 000000005CDC: 7E5C452E
	v_rcp_f32_e32 v47, v47                                     // 000000005CE0: 7E5E452F
	v_pk_mul_f32 v[136:137], v[136:137], v[44:45]              // 000000005CE4: D3B14088 18025988
	v_pk_mul_f32 v[138:139], v[138:139], v[46:47]              // 000000005CEC: D3B1408A 18025D8A
	buffer_load_dwordx4 a[24:27], v49, s[12:15], 0 offen offset:2048// 000000005CF4: E05C1800 80831831
	v_pk_mul_f32 v[44:45], v[140:141], v[140:141]              // 000000005CFC: D3B1402C 1803198C
	v_pk_mul_f32 v[46:47], v[142:143], v[142:143]              // 000000005D04: D3B1402E 18031D8E
	v_pk_fma_f32 v[44:45], v[44:45], s[82:83], v[60:61]        // 000000005D0C: D3B0402C 1CF0A52C
	v_pk_fma_f32 v[46:47], v[46:47], s[82:83], v[60:61]        // 000000005D14: D3B0402E 1CF0A52E
	v_pk_mul_f32 v[44:45], v[44:45], v[140:141]                // 000000005D1C: D3B1402C 1803192C
	v_pk_mul_f32 v[46:47], v[46:47], v[142:143]                // 000000005D24: D3B1402E 18031D2E
	v_pk_mul_f32 v[44:45], v[44:45], s[6:7]                    // 000000005D2C: D3B1402C 18000D2C
	v_pk_mul_f32 v[46:47], v[46:47], s[6:7]                    // 000000005D34: D3B1402E 18000D2E
	v_exp_f32_e32 v44, v44                                     // 000000005D3C: 7E58412C
	v_exp_f32_e32 v45, v45                                     // 000000005D40: 7E5A412D
	v_exp_f32_e32 v46, v46                                     // 000000005D44: 7E5C412E
	v_exp_f32_e32 v47, v47                                     // 000000005D48: 7E5E412F
	buffer_load_dwordx4 a[28:31], v49, s[12:15], 0 offen offset:3072// 000000005D4C: E05C1C00 80831C31
	v_add_f32_e64 v44, v44, 1.0                                // 000000005D54: D101002C 0001E52C
	v_add_f32_e64 v45, v45, 1.0                                // 000000005D5C: D101002D 0001E52D
	v_add_f32_e64 v46, v46, 1.0                                // 000000005D64: D101002E 0001E52E
	v_add_f32_e64 v47, v47, 1.0                                // 000000005D6C: D101002F 0001E52F
	v_rcp_f32_e32 v44, v44                                     // 000000005D74: 7E58452C
	v_rcp_f32_e32 v45, v45                                     // 000000005D78: 7E5A452D
	v_rcp_f32_e32 v46, v46                                     // 000000005D7C: 7E5C452E
	v_rcp_f32_e32 v47, v47                                     // 000000005D80: 7E5E452F
	v_pk_mul_f32 v[140:141], v[140:141], v[44:45]              // 000000005D84: D3B1408C 1802598C
	v_pk_mul_f32 v[142:143], v[142:143], v[46:47]              // 000000005D8C: D3B1408E 18025D8E
	s_waitcnt vmcnt(24)                                        // 000000005D94: BF8C4F78
	buffer_load_dwordx4 a[32:35], v50, s[12:15], 0 offen       // 000000005D98: E05C1000 80832032
	v_pk_mul_f32 v[44:45], v[144:145], v[144:145]              // 000000005DA0: D3B1402C 18032190
	v_pk_mul_f32 v[46:47], v[146:147], v[146:147]              // 000000005DA8: D3B1402E 18032592
	v_pk_fma_f32 v[44:45], v[44:45], s[82:83], v[60:61]        // 000000005DB0: D3B0402C 1CF0A52C
	v_pk_fma_f32 v[46:47], v[46:47], s[82:83], v[60:61]        // 000000005DB8: D3B0402E 1CF0A52E
	v_pk_mul_f32 v[44:45], v[44:45], v[144:145]                // 000000005DC0: D3B1402C 1803212C
	v_pk_mul_f32 v[46:47], v[46:47], v[146:147]                // 000000005DC8: D3B1402E 1803252E
	v_pk_mul_f32 v[44:45], v[44:45], s[6:7]                    // 000000005DD0: D3B1402C 18000D2C
	v_pk_mul_f32 v[46:47], v[46:47], s[6:7]                    // 000000005DD8: D3B1402E 18000D2E
	v_exp_f32_e32 v44, v44                                     // 000000005DE0: 7E58412C
	v_exp_f32_e32 v45, v45                                     // 000000005DE4: 7E5A412D
	v_exp_f32_e32 v46, v46                                     // 000000005DE8: 7E5C412E
	v_exp_f32_e32 v47, v47                                     // 000000005DEC: 7E5E412F
	buffer_load_dwordx4 a[36:39], v50, s[12:15], 0 offen offset:1024// 000000005DF0: E05C1400 80832432
	v_add_f32_e64 v44, v44, 1.0                                // 000000005DF8: D101002C 0001E52C
	v_add_f32_e64 v45, v45, 1.0                                // 000000005E00: D101002D 0001E52D
	v_add_f32_e64 v46, v46, 1.0                                // 000000005E08: D101002E 0001E52E
	v_add_f32_e64 v47, v47, 1.0                                // 000000005E10: D101002F 0001E52F
	v_rcp_f32_e32 v44, v44                                     // 000000005E18: 7E58452C
	v_rcp_f32_e32 v45, v45                                     // 000000005E1C: 7E5A452D
	v_rcp_f32_e32 v46, v46                                     // 000000005E20: 7E5C452E
	v_rcp_f32_e32 v47, v47                                     // 000000005E24: 7E5E452F
	v_pk_mul_f32 v[144:145], v[144:145], v[44:45]              // 000000005E28: D3B14090 18025990
	v_pk_mul_f32 v[146:147], v[146:147], v[46:47]              // 000000005E30: D3B14092 18025D92
	buffer_load_dwordx4 a[40:43], v50, s[12:15], 0 offen offset:2048// 000000005E38: E05C1800 80832832
	v_pk_mul_f32 v[44:45], v[148:149], v[148:149]              // 000000005E40: D3B1402C 18032994
	v_pk_mul_f32 v[46:47], v[150:151], v[150:151]              // 000000005E48: D3B1402E 18032D96
	v_pk_fma_f32 v[44:45], v[44:45], s[82:83], v[60:61]        // 000000005E50: D3B0402C 1CF0A52C
	v_pk_fma_f32 v[46:47], v[46:47], s[82:83], v[60:61]        // 000000005E58: D3B0402E 1CF0A52E
	v_pk_mul_f32 v[44:45], v[44:45], v[148:149]                // 000000005E60: D3B1402C 1803292C
	v_pk_mul_f32 v[46:47], v[46:47], v[150:151]                // 000000005E68: D3B1402E 18032D2E
	v_pk_mul_f32 v[44:45], v[44:45], s[6:7]                    // 000000005E70: D3B1402C 18000D2C
	v_pk_mul_f32 v[46:47], v[46:47], s[6:7]                    // 000000005E78: D3B1402E 18000D2E
	v_exp_f32_e32 v44, v44                                     // 000000005E80: 7E58412C
	v_exp_f32_e32 v45, v45                                     // 000000005E84: 7E5A412D
	v_exp_f32_e32 v46, v46                                     // 000000005E88: 7E5C412E
	v_exp_f32_e32 v47, v47                                     // 000000005E8C: 7E5E412F
	buffer_load_dwordx4 a[44:47], v50, s[12:15], 0 offen offset:3072// 000000005E90: E05C1C00 80832C32
	v_add_f32_e64 v44, v44, 1.0                                // 000000005E98: D101002C 0001E52C
	v_add_f32_e64 v45, v45, 1.0                                // 000000005EA0: D101002D 0001E52D
	v_add_f32_e64 v46, v46, 1.0                                // 000000005EA8: D101002E 0001E52E
	v_add_f32_e64 v47, v47, 1.0                                // 000000005EB0: D101002F 0001E52F
	v_rcp_f32_e32 v44, v44                                     // 000000005EB8: 7E58452C
	v_rcp_f32_e32 v45, v45                                     // 000000005EBC: 7E5A452D
	v_rcp_f32_e32 v46, v46                                     // 000000005EC0: 7E5C452E
	v_rcp_f32_e32 v47, v47                                     // 000000005EC4: 7E5E452F
	v_pk_mul_f32 v[148:149], v[148:149], v[44:45]              // 000000005EC8: D3B14094 18025994
	v_pk_mul_f32 v[150:151], v[150:151], v[46:47]              // 000000005ED0: D3B14096 18025D96
	buffer_load_dwordx4 a[48:51], v51, s[12:15], 0 offen       // 000000005ED8: E05C1000 80833033
	v_pk_mul_f32 v[44:45], v[152:153], v[152:153]              // 000000005EE0: D3B1402C 18033198
	v_pk_mul_f32 v[46:47], v[154:155], v[154:155]              // 000000005EE8: D3B1402E 1803359A
	v_pk_fma_f32 v[44:45], v[44:45], s[82:83], v[60:61]        // 000000005EF0: D3B0402C 1CF0A52C
	v_pk_fma_f32 v[46:47], v[46:47], s[82:83], v[60:61]        // 000000005EF8: D3B0402E 1CF0A52E
	v_pk_mul_f32 v[44:45], v[44:45], v[152:153]                // 000000005F00: D3B1402C 1803312C
	v_pk_mul_f32 v[46:47], v[46:47], v[154:155]                // 000000005F08: D3B1402E 1803352E
	v_pk_mul_f32 v[44:45], v[44:45], s[6:7]                    // 000000005F10: D3B1402C 18000D2C
	v_pk_mul_f32 v[46:47], v[46:47], s[6:7]                    // 000000005F18: D3B1402E 18000D2E
	v_exp_f32_e32 v44, v44                                     // 000000005F20: 7E58412C
	v_exp_f32_e32 v45, v45                                     // 000000005F24: 7E5A412D
	v_exp_f32_e32 v46, v46                                     // 000000005F28: 7E5C412E
	v_exp_f32_e32 v47, v47                                     // 000000005F2C: 7E5E412F
	buffer_load_dwordx4 a[52:55], v51, s[12:15], 0 offen offset:1024// 000000005F30: E05C1400 80833433
	v_add_f32_e64 v44, v44, 1.0                                // 000000005F38: D101002C 0001E52C
	v_add_f32_e64 v45, v45, 1.0                                // 000000005F40: D101002D 0001E52D
	v_add_f32_e64 v46, v46, 1.0                                // 000000005F48: D101002E 0001E52E
	v_add_f32_e64 v47, v47, 1.0                                // 000000005F50: D101002F 0001E52F
	v_rcp_f32_e32 v44, v44                                     // 000000005F58: 7E58452C
	v_rcp_f32_e32 v45, v45                                     // 000000005F5C: 7E5A452D
	v_rcp_f32_e32 v46, v46                                     // 000000005F60: 7E5C452E
	v_rcp_f32_e32 v47, v47                                     // 000000005F64: 7E5E452F
	v_pk_mul_f32 v[152:153], v[152:153], v[44:45]              // 000000005F68: D3B14098 18025998
	v_pk_mul_f32 v[154:155], v[154:155], v[46:47]              // 000000005F70: D3B1409A 18025D9A
	buffer_load_dwordx4 a[56:59], v51, s[12:15], 0 offen offset:2048// 000000005F78: E05C1800 80833833
	v_pk_mul_f32 v[44:45], v[156:157], v[156:157]              // 000000005F80: D3B1402C 1803399C
	v_pk_mul_f32 v[46:47], v[158:159], v[158:159]              // 000000005F88: D3B1402E 18033D9E
	v_pk_fma_f32 v[44:45], v[44:45], s[82:83], v[60:61]        // 000000005F90: D3B0402C 1CF0A52C
	v_pk_fma_f32 v[46:47], v[46:47], s[82:83], v[60:61]        // 000000005F98: D3B0402E 1CF0A52E
	v_pk_mul_f32 v[44:45], v[44:45], v[156:157]                // 000000005FA0: D3B1402C 1803392C
	v_pk_mul_f32 v[46:47], v[46:47], v[158:159]                // 000000005FA8: D3B1402E 18033D2E
	v_pk_mul_f32 v[44:45], v[44:45], s[6:7]                    // 000000005FB0: D3B1402C 18000D2C
	v_pk_mul_f32 v[46:47], v[46:47], s[6:7]                    // 000000005FB8: D3B1402E 18000D2E
	v_exp_f32_e32 v44, v44                                     // 000000005FC0: 7E58412C
	v_exp_f32_e32 v45, v45                                     // 000000005FC4: 7E5A412D
	v_exp_f32_e32 v46, v46                                     // 000000005FC8: 7E5C412E
	v_exp_f32_e32 v47, v47                                     // 000000005FCC: 7E5E412F
	buffer_load_dwordx4 a[60:63], v51, s[12:15], 0 offen offset:3072// 000000005FD0: E05C1C00 80833C33
	s_add_u32 s12, s78, s12                                    // 000000005FD8: 800C0C4E
	s_addc_u32 s13, 0, s13                                     // 000000005FDC: 820D0D80
	v_add_f32_e64 v44, v44, 1.0                                // 000000005FE0: D101002C 0001E52C
	v_add_f32_e64 v45, v45, 1.0                                // 000000005FE8: D101002D 0001E52D
	v_add_f32_e64 v46, v46, 1.0                                // 000000005FF0: D101002E 0001E52E
	v_add_f32_e64 v47, v47, 1.0                                // 000000005FF8: D101002F 0001E52F
	v_rcp_f32_e32 v44, v44                                     // 000000006000: 7E58452C
	v_rcp_f32_e32 v45, v45                                     // 000000006004: 7E5A452D
	v_rcp_f32_e32 v46, v46                                     // 000000006008: 7E5C452E
	v_rcp_f32_e32 v47, v47                                     // 00000000600C: 7E5E452F
	v_pk_mul_f32 v[156:157], v[156:157], v[44:45]              // 000000006010: D3B1409C 1802599C
	v_pk_mul_f32 v[158:159], v[158:159], v[46:47]              // 000000006018: D3B1409E 18025D9E
	s_waitcnt vmcnt(24)                                        // 000000006020: BF8C4F78
	buffer_load_dwordx4 a[64:67], v48, s[12:15], 0 offen       // 000000006024: E05C1000 80834030
	v_pk_mul_f32 v[44:45], v[160:161], v[160:161]              // 00000000602C: D3B1402C 180341A0
	v_pk_mul_f32 v[46:47], v[162:163], v[162:163]              // 000000006034: D3B1402E 180345A2
	v_pk_fma_f32 v[44:45], v[44:45], s[82:83], v[60:61]        // 00000000603C: D3B0402C 1CF0A52C
	v_pk_fma_f32 v[46:47], v[46:47], s[82:83], v[60:61]        // 000000006044: D3B0402E 1CF0A52E
	v_pk_mul_f32 v[44:45], v[44:45], v[160:161]                // 00000000604C: D3B1402C 1803412C
	v_pk_mul_f32 v[46:47], v[46:47], v[162:163]                // 000000006054: D3B1402E 1803452E
	v_pk_mul_f32 v[44:45], v[44:45], s[6:7]                    // 00000000605C: D3B1402C 18000D2C
	v_pk_mul_f32 v[46:47], v[46:47], s[6:7]                    // 000000006064: D3B1402E 18000D2E
	v_exp_f32_e32 v44, v44                                     // 00000000606C: 7E58412C
	v_exp_f32_e32 v45, v45                                     // 000000006070: 7E5A412D
	v_exp_f32_e32 v46, v46                                     // 000000006074: 7E5C412E
	v_exp_f32_e32 v47, v47                                     // 000000006078: 7E5E412F
	buffer_load_dwordx4 a[68:71], v48, s[12:15], 0 offen offset:1024// 00000000607C: E05C1400 80834430
	v_add_f32_e64 v44, v44, 1.0                                // 000000006084: D101002C 0001E52C
	v_add_f32_e64 v45, v45, 1.0                                // 00000000608C: D101002D 0001E52D
	v_add_f32_e64 v46, v46, 1.0                                // 000000006094: D101002E 0001E52E
	v_add_f32_e64 v47, v47, 1.0                                // 00000000609C: D101002F 0001E52F
	v_rcp_f32_e32 v44, v44                                     // 0000000060A4: 7E58452C
	v_rcp_f32_e32 v45, v45                                     // 0000000060A8: 7E5A452D
	v_rcp_f32_e32 v46, v46                                     // 0000000060AC: 7E5C452E
	v_rcp_f32_e32 v47, v47                                     // 0000000060B0: 7E5E452F
	v_pk_mul_f32 v[160:161], v[160:161], v[44:45]              // 0000000060B4: D3B140A0 180259A0
	v_pk_mul_f32 v[162:163], v[162:163], v[46:47]              // 0000000060BC: D3B140A2 18025DA2
	buffer_load_dwordx4 a[72:75], v48, s[12:15], 0 offen offset:2048// 0000000060C4: E05C1800 80834830
	v_pk_mul_f32 v[44:45], v[164:165], v[164:165]              // 0000000060CC: D3B1402C 180349A4
	v_pk_mul_f32 v[46:47], v[166:167], v[166:167]              // 0000000060D4: D3B1402E 18034DA6
	v_pk_fma_f32 v[44:45], v[44:45], s[82:83], v[60:61]        // 0000000060DC: D3B0402C 1CF0A52C
	v_pk_fma_f32 v[46:47], v[46:47], s[82:83], v[60:61]        // 0000000060E4: D3B0402E 1CF0A52E
	v_pk_mul_f32 v[44:45], v[44:45], v[164:165]                // 0000000060EC: D3B1402C 1803492C
	v_pk_mul_f32 v[46:47], v[46:47], v[166:167]                // 0000000060F4: D3B1402E 18034D2E
	v_pk_mul_f32 v[44:45], v[44:45], s[6:7]                    // 0000000060FC: D3B1402C 18000D2C
	v_pk_mul_f32 v[46:47], v[46:47], s[6:7]                    // 000000006104: D3B1402E 18000D2E
	v_exp_f32_e32 v44, v44                                     // 00000000610C: 7E58412C
	v_exp_f32_e32 v45, v45                                     // 000000006110: 7E5A412D
	v_exp_f32_e32 v46, v46                                     // 000000006114: 7E5C412E
	v_exp_f32_e32 v47, v47                                     // 000000006118: 7E5E412F
	buffer_load_dwordx4 a[76:79], v48, s[12:15], 0 offen offset:3072// 00000000611C: E05C1C00 80834C30
	v_add_f32_e64 v44, v44, 1.0                                // 000000006124: D101002C 0001E52C
	v_add_f32_e64 v45, v45, 1.0                                // 00000000612C: D101002D 0001E52D
	v_add_f32_e64 v46, v46, 1.0                                // 000000006134: D101002E 0001E52E
	v_add_f32_e64 v47, v47, 1.0                                // 00000000613C: D101002F 0001E52F
	v_rcp_f32_e32 v44, v44                                     // 000000006144: 7E58452C
	v_rcp_f32_e32 v45, v45                                     // 000000006148: 7E5A452D
	v_rcp_f32_e32 v46, v46                                     // 00000000614C: 7E5C452E
	v_rcp_f32_e32 v47, v47                                     // 000000006150: 7E5E452F
	v_pk_mul_f32 v[164:165], v[164:165], v[44:45]              // 000000006154: D3B140A4 180259A4
	v_pk_mul_f32 v[166:167], v[166:167], v[46:47]              // 00000000615C: D3B140A6 18025DA6
	buffer_load_dwordx4 a[80:83], v49, s[12:15], 0 offen       // 000000006164: E05C1000 80835031
	v_pk_mul_f32 v[44:45], v[168:169], v[168:169]              // 00000000616C: D3B1402C 180351A8
	v_pk_mul_f32 v[46:47], v[170:171], v[170:171]              // 000000006174: D3B1402E 180355AA
	v_pk_fma_f32 v[44:45], v[44:45], s[82:83], v[60:61]        // 00000000617C: D3B0402C 1CF0A52C
	v_pk_fma_f32 v[46:47], v[46:47], s[82:83], v[60:61]        // 000000006184: D3B0402E 1CF0A52E
	v_pk_mul_f32 v[44:45], v[44:45], v[168:169]                // 00000000618C: D3B1402C 1803512C
	v_pk_mul_f32 v[46:47], v[46:47], v[170:171]                // 000000006194: D3B1402E 1803552E
	v_pk_mul_f32 v[44:45], v[44:45], s[6:7]                    // 00000000619C: D3B1402C 18000D2C
	v_pk_mul_f32 v[46:47], v[46:47], s[6:7]                    // 0000000061A4: D3B1402E 18000D2E
	v_exp_f32_e32 v44, v44                                     // 0000000061AC: 7E58412C
	v_exp_f32_e32 v45, v45                                     // 0000000061B0: 7E5A412D
	v_exp_f32_e32 v46, v46                                     // 0000000061B4: 7E5C412E
	v_exp_f32_e32 v47, v47                                     // 0000000061B8: 7E5E412F
	buffer_load_dwordx4 a[84:87], v49, s[12:15], 0 offen offset:1024// 0000000061BC: E05C1400 80835431
	v_add_f32_e64 v44, v44, 1.0                                // 0000000061C4: D101002C 0001E52C
	v_add_f32_e64 v45, v45, 1.0                                // 0000000061CC: D101002D 0001E52D
	v_add_f32_e64 v46, v46, 1.0                                // 0000000061D4: D101002E 0001E52E
	v_add_f32_e64 v47, v47, 1.0                                // 0000000061DC: D101002F 0001E52F
	v_rcp_f32_e32 v44, v44                                     // 0000000061E4: 7E58452C
	v_rcp_f32_e32 v45, v45                                     // 0000000061E8: 7E5A452D
	v_rcp_f32_e32 v46, v46                                     // 0000000061EC: 7E5C452E
	v_rcp_f32_e32 v47, v47                                     // 0000000061F0: 7E5E452F
	v_pk_mul_f32 v[168:169], v[168:169], v[44:45]              // 0000000061F4: D3B140A8 180259A8
	v_pk_mul_f32 v[170:171], v[170:171], v[46:47]              // 0000000061FC: D3B140AA 18025DAA
	buffer_load_dwordx4 a[88:91], v49, s[12:15], 0 offen offset:2048// 000000006204: E05C1800 80835831
	v_pk_mul_f32 v[44:45], v[172:173], v[172:173]              // 00000000620C: D3B1402C 180359AC
	v_pk_mul_f32 v[46:47], v[174:175], v[174:175]              // 000000006214: D3B1402E 18035DAE
	v_pk_fma_f32 v[44:45], v[44:45], s[82:83], v[60:61]        // 00000000621C: D3B0402C 1CF0A52C
	v_pk_fma_f32 v[46:47], v[46:47], s[82:83], v[60:61]        // 000000006224: D3B0402E 1CF0A52E
	v_pk_mul_f32 v[44:45], v[44:45], v[172:173]                // 00000000622C: D3B1402C 1803592C
	v_pk_mul_f32 v[46:47], v[46:47], v[174:175]                // 000000006234: D3B1402E 18035D2E
	v_pk_mul_f32 v[44:45], v[44:45], s[6:7]                    // 00000000623C: D3B1402C 18000D2C
	v_pk_mul_f32 v[46:47], v[46:47], s[6:7]                    // 000000006244: D3B1402E 18000D2E
	v_exp_f32_e32 v44, v44                                     // 00000000624C: 7E58412C
	v_exp_f32_e32 v45, v45                                     // 000000006250: 7E5A412D
	v_exp_f32_e32 v46, v46                                     // 000000006254: 7E5C412E
	v_exp_f32_e32 v47, v47                                     // 000000006258: 7E5E412F
	buffer_load_dwordx4 a[92:95], v49, s[12:15], 0 offen offset:3072// 00000000625C: E05C1C00 80835C31
	v_add_f32_e64 v44, v44, 1.0                                // 000000006264: D101002C 0001E52C
	v_add_f32_e64 v45, v45, 1.0                                // 00000000626C: D101002D 0001E52D
	v_add_f32_e64 v46, v46, 1.0                                // 000000006274: D101002E 0001E52E
	v_add_f32_e64 v47, v47, 1.0                                // 00000000627C: D101002F 0001E52F
	v_rcp_f32_e32 v44, v44                                     // 000000006284: 7E58452C
	v_rcp_f32_e32 v45, v45                                     // 000000006288: 7E5A452D
	v_rcp_f32_e32 v46, v46                                     // 00000000628C: 7E5C452E
	v_rcp_f32_e32 v47, v47                                     // 000000006290: 7E5E452F
	v_pk_mul_f32 v[172:173], v[172:173], v[44:45]              // 000000006294: D3B140AC 180259AC
	v_pk_mul_f32 v[174:175], v[174:175], v[46:47]              // 00000000629C: D3B140AE 18025DAE
	s_waitcnt vmcnt(24)                                        // 0000000062A4: BF8C4F78
	buffer_load_dwordx4 a[96:99], v50, s[12:15], 0 offen       // 0000000062A8: E05C1000 80836032
	v_pk_mul_f32 v[44:45], v[176:177], v[176:177]              // 0000000062B0: D3B1402C 180361B0
	v_pk_mul_f32 v[46:47], v[178:179], v[178:179]              // 0000000062B8: D3B1402E 180365B2
	v_pk_fma_f32 v[44:45], v[44:45], s[82:83], v[60:61]        // 0000000062C0: D3B0402C 1CF0A52C
	v_pk_fma_f32 v[46:47], v[46:47], s[82:83], v[60:61]        // 0000000062C8: D3B0402E 1CF0A52E
	v_pk_mul_f32 v[44:45], v[44:45], v[176:177]                // 0000000062D0: D3B1402C 1803612C
	v_pk_mul_f32 v[46:47], v[46:47], v[178:179]                // 0000000062D8: D3B1402E 1803652E
	v_pk_mul_f32 v[44:45], v[44:45], s[6:7]                    // 0000000062E0: D3B1402C 18000D2C
	v_pk_mul_f32 v[46:47], v[46:47], s[6:7]                    // 0000000062E8: D3B1402E 18000D2E
	v_exp_f32_e32 v44, v44                                     // 0000000062F0: 7E58412C
	v_exp_f32_e32 v45, v45                                     // 0000000062F4: 7E5A412D
	v_exp_f32_e32 v46, v46                                     // 0000000062F8: 7E5C412E
	v_exp_f32_e32 v47, v47                                     // 0000000062FC: 7E5E412F
	buffer_load_dwordx4 a[100:103], v50, s[12:15], 0 offen offset:1024// 000000006300: E05C1400 80836432
	v_add_f32_e64 v44, v44, 1.0                                // 000000006308: D101002C 0001E52C
	v_add_f32_e64 v45, v45, 1.0                                // 000000006310: D101002D 0001E52D
	v_add_f32_e64 v46, v46, 1.0                                // 000000006318: D101002E 0001E52E
	v_add_f32_e64 v47, v47, 1.0                                // 000000006320: D101002F 0001E52F
	v_rcp_f32_e32 v44, v44                                     // 000000006328: 7E58452C
	v_rcp_f32_e32 v45, v45                                     // 00000000632C: 7E5A452D
	v_rcp_f32_e32 v46, v46                                     // 000000006330: 7E5C452E
	v_rcp_f32_e32 v47, v47                                     // 000000006334: 7E5E452F
	v_pk_mul_f32 v[176:177], v[176:177], v[44:45]              // 000000006338: D3B140B0 180259B0
	v_pk_mul_f32 v[178:179], v[178:179], v[46:47]              // 000000006340: D3B140B2 18025DB2
	buffer_load_dwordx4 a[104:107], v50, s[12:15], 0 offen offset:2048// 000000006348: E05C1800 80836832
	v_pk_mul_f32 v[44:45], v[180:181], v[180:181]              // 000000006350: D3B1402C 180369B4
	v_pk_mul_f32 v[46:47], v[182:183], v[182:183]              // 000000006358: D3B1402E 18036DB6
	v_pk_fma_f32 v[44:45], v[44:45], s[82:83], v[60:61]        // 000000006360: D3B0402C 1CF0A52C
	v_pk_fma_f32 v[46:47], v[46:47], s[82:83], v[60:61]        // 000000006368: D3B0402E 1CF0A52E
	v_pk_mul_f32 v[44:45], v[44:45], v[180:181]                // 000000006370: D3B1402C 1803692C
	v_pk_mul_f32 v[46:47], v[46:47], v[182:183]                // 000000006378: D3B1402E 18036D2E
	v_pk_mul_f32 v[44:45], v[44:45], s[6:7]                    // 000000006380: D3B1402C 18000D2C
	v_pk_mul_f32 v[46:47], v[46:47], s[6:7]                    // 000000006388: D3B1402E 18000D2E
	v_exp_f32_e32 v44, v44                                     // 000000006390: 7E58412C
	v_exp_f32_e32 v45, v45                                     // 000000006394: 7E5A412D
	v_exp_f32_e32 v46, v46                                     // 000000006398: 7E5C412E
	v_exp_f32_e32 v47, v47                                     // 00000000639C: 7E5E412F
	buffer_load_dwordx4 a[108:111], v50, s[12:15], 0 offen offset:3072// 0000000063A0: E05C1C00 80836C32
	v_add_f32_e64 v44, v44, 1.0                                // 0000000063A8: D101002C 0001E52C
	v_add_f32_e64 v45, v45, 1.0                                // 0000000063B0: D101002D 0001E52D
	v_add_f32_e64 v46, v46, 1.0                                // 0000000063B8: D101002E 0001E52E
	v_add_f32_e64 v47, v47, 1.0                                // 0000000063C0: D101002F 0001E52F
	v_rcp_f32_e32 v44, v44                                     // 0000000063C8: 7E58452C
	v_rcp_f32_e32 v45, v45                                     // 0000000063CC: 7E5A452D
	v_rcp_f32_e32 v46, v46                                     // 0000000063D0: 7E5C452E
	v_rcp_f32_e32 v47, v47                                     // 0000000063D4: 7E5E452F
	v_pk_mul_f32 v[180:181], v[180:181], v[44:45]              // 0000000063D8: D3B140B4 180259B4
	v_pk_mul_f32 v[182:183], v[182:183], v[46:47]              // 0000000063E0: D3B140B6 18025DB6
	buffer_load_dwordx4 a[112:115], v51, s[12:15], 0 offen     // 0000000063E8: E05C1000 80837033
	v_pk_mul_f32 v[44:45], v[184:185], v[184:185]              // 0000000063F0: D3B1402C 180371B8
	v_pk_mul_f32 v[46:47], v[186:187], v[186:187]              // 0000000063F8: D3B1402E 180375BA
	v_pk_fma_f32 v[44:45], v[44:45], s[82:83], v[60:61]        // 000000006400: D3B0402C 1CF0A52C
	v_pk_fma_f32 v[46:47], v[46:47], s[82:83], v[60:61]        // 000000006408: D3B0402E 1CF0A52E
	v_pk_mul_f32 v[44:45], v[44:45], v[184:185]                // 000000006410: D3B1402C 1803712C
	v_pk_mul_f32 v[46:47], v[46:47], v[186:187]                // 000000006418: D3B1402E 1803752E
	v_pk_mul_f32 v[44:45], v[44:45], s[6:7]                    // 000000006420: D3B1402C 18000D2C
	v_pk_mul_f32 v[46:47], v[46:47], s[6:7]                    // 000000006428: D3B1402E 18000D2E
	v_exp_f32_e32 v44, v44                                     // 000000006430: 7E58412C
	v_exp_f32_e32 v45, v45                                     // 000000006434: 7E5A412D
	v_exp_f32_e32 v46, v46                                     // 000000006438: 7E5C412E
	v_exp_f32_e32 v47, v47                                     // 00000000643C: 7E5E412F
	buffer_load_dwordx4 a[116:119], v51, s[12:15], 0 offen offset:1024// 000000006440: E05C1400 80837433
	v_add_f32_e64 v44, v44, 1.0                                // 000000006448: D101002C 0001E52C
	v_add_f32_e64 v45, v45, 1.0                                // 000000006450: D101002D 0001E52D
	v_add_f32_e64 v46, v46, 1.0                                // 000000006458: D101002E 0001E52E
	v_add_f32_e64 v47, v47, 1.0                                // 000000006460: D101002F 0001E52F
	v_rcp_f32_e32 v44, v44                                     // 000000006468: 7E58452C
	v_rcp_f32_e32 v45, v45                                     // 00000000646C: 7E5A452D
	v_rcp_f32_e32 v46, v46                                     // 000000006470: 7E5C452E
	v_rcp_f32_e32 v47, v47                                     // 000000006474: 7E5E452F
	v_pk_mul_f32 v[184:185], v[184:185], v[44:45]              // 000000006478: D3B140B8 180259B8
	v_pk_mul_f32 v[186:187], v[186:187], v[46:47]              // 000000006480: D3B140BA 18025DBA
	buffer_load_dwordx4 a[120:123], v51, s[12:15], 0 offen offset:2048// 000000006488: E05C1800 80837833
	v_pk_mul_f32 v[44:45], v[188:189], v[188:189]              // 000000006490: D3B1402C 180379BC
	v_pk_mul_f32 v[46:47], v[190:191], v[190:191]              // 000000006498: D3B1402E 18037DBE
	v_pk_fma_f32 v[44:45], v[44:45], s[82:83], v[60:61]        // 0000000064A0: D3B0402C 1CF0A52C
	v_pk_fma_f32 v[46:47], v[46:47], s[82:83], v[60:61]        // 0000000064A8: D3B0402E 1CF0A52E
	v_pk_mul_f32 v[44:45], v[44:45], v[188:189]                // 0000000064B0: D3B1402C 1803792C
	v_pk_mul_f32 v[46:47], v[46:47], v[190:191]                // 0000000064B8: D3B1402E 18037D2E
	v_pk_mul_f32 v[44:45], v[44:45], s[6:7]                    // 0000000064C0: D3B1402C 18000D2C
	v_pk_mul_f32 v[46:47], v[46:47], s[6:7]                    // 0000000064C8: D3B1402E 18000D2E
	v_exp_f32_e32 v44, v44                                     // 0000000064D0: 7E58412C
	v_exp_f32_e32 v45, v45                                     // 0000000064D4: 7E5A412D
	v_exp_f32_e32 v46, v46                                     // 0000000064D8: 7E5C412E
	v_exp_f32_e32 v47, v47                                     // 0000000064DC: 7E5E412F
	buffer_load_dwordx4 a[124:127], v51, s[12:15], 0 offen offset:3072// 0000000064E0: E05C1C00 80837C33
	v_add_f32_e64 v44, v44, 1.0                                // 0000000064E8: D101002C 0001E52C
	v_add_f32_e64 v45, v45, 1.0                                // 0000000064F0: D101002D 0001E52D
	v_add_f32_e64 v46, v46, 1.0                                // 0000000064F8: D101002E 0001E52E
	v_add_f32_e64 v47, v47, 1.0                                // 000000006500: D101002F 0001E52F
	v_rcp_f32_e32 v44, v44                                     // 000000006508: 7E58452C
	v_rcp_f32_e32 v45, v45                                     // 00000000650C: 7E5A452D
	v_rcp_f32_e32 v46, v46                                     // 000000006510: 7E5C452E
	v_rcp_f32_e32 v47, v47                                     // 000000006514: 7E5E452F
	v_pk_mul_f32 v[188:189], v[188:189], v[44:45]              // 000000006518: D3B140BC 180259BC
	v_pk_mul_f32 v[190:191], v[190:191], v[46:47]              // 000000006520: D3B140BE 18025DBE
	v_mul_f32_dpp v128, v18, v128 row_newbcast:0 row_mask:0xf bank_mask:0xf// 000000006528: 0B0100FA FF015012
	v_mul_f32_dpp v129, v18, v129 row_newbcast:1 row_mask:0xf bank_mask:0xf// 000000006530: 0B0302FA FF015112
	v_mul_f32_dpp v130, v18, v130 row_newbcast:2 row_mask:0xf bank_mask:0xf// 000000006538: 0B0504FA FF015212
	v_mul_f32_dpp v131, v18, v131 row_newbcast:3 row_mask:0xf bank_mask:0xf// 000000006540: 0B0706FA FF015312
	v_mul_f32_dpp v132, v18, v132 row_newbcast:0 row_mask:0xf bank_mask:0xf// 000000006548: 0B0908FA FF015012
	v_mul_f32_dpp v133, v18, v133 row_newbcast:1 row_mask:0xf bank_mask:0xf// 000000006550: 0B0B0AFA FF015112
	v_mul_f32_dpp v134, v18, v134 row_newbcast:2 row_mask:0xf bank_mask:0xf// 000000006558: 0B0D0CFA FF015212
	v_mul_f32_dpp v135, v18, v135 row_newbcast:3 row_mask:0xf bank_mask:0xf// 000000006560: 0B0F0EFA FF015312
	v_mul_f32_dpp v136, v18, v136 row_newbcast:4 row_mask:0xf bank_mask:0xf// 000000006568: 0B1110FA FF015412
	v_mul_f32_dpp v137, v18, v137 row_newbcast:5 row_mask:0xf bank_mask:0xf// 000000006570: 0B1312FA FF015512
	v_mul_f32_dpp v138, v18, v138 row_newbcast:6 row_mask:0xf bank_mask:0xf// 000000006578: 0B1514FA FF015612
	v_mul_f32_dpp v139, v18, v139 row_newbcast:7 row_mask:0xf bank_mask:0xf// 000000006580: 0B1716FA FF015712
	v_mul_f32_dpp v140, v18, v140 row_newbcast:4 row_mask:0xf bank_mask:0xf// 000000006588: 0B1918FA FF015412
	v_mul_f32_dpp v141, v18, v141 row_newbcast:5 row_mask:0xf bank_mask:0xf// 000000006590: 0B1B1AFA FF015512
	v_mul_f32_dpp v142, v18, v142 row_newbcast:6 row_mask:0xf bank_mask:0xf// 000000006598: 0B1D1CFA FF015612
	v_mul_f32_dpp v143, v18, v143 row_newbcast:7 row_mask:0xf bank_mask:0xf// 0000000065A0: 0B1F1EFA FF015712
	v_mul_f32_dpp v144, v18, v144 row_newbcast:8 row_mask:0xf bank_mask:0xf// 0000000065A8: 0B2120FA FF015812
	v_mul_f32_dpp v145, v18, v145 row_newbcast:9 row_mask:0xf bank_mask:0xf// 0000000065B0: 0B2322FA FF015912
	v_mul_f32_dpp v146, v18, v146 row_newbcast:10 row_mask:0xf bank_mask:0xf// 0000000065B8: 0B2524FA FF015A12
	v_mul_f32_dpp v147, v18, v147 row_newbcast:11 row_mask:0xf bank_mask:0xf// 0000000065C0: 0B2726FA FF015B12
	v_mul_f32_dpp v148, v18, v148 row_newbcast:8 row_mask:0xf bank_mask:0xf// 0000000065C8: 0B2928FA FF015812
	v_mul_f32_dpp v149, v18, v149 row_newbcast:9 row_mask:0xf bank_mask:0xf// 0000000065D0: 0B2B2AFA FF015912
	v_mul_f32_dpp v150, v18, v150 row_newbcast:10 row_mask:0xf bank_mask:0xf// 0000000065D8: 0B2D2CFA FF015A12
	v_mul_f32_dpp v151, v18, v151 row_newbcast:11 row_mask:0xf bank_mask:0xf// 0000000065E0: 0B2F2EFA FF015B12
	v_mul_f32_dpp v152, v18, v152 row_newbcast:12 row_mask:0xf bank_mask:0xf// 0000000065E8: 0B3130FA FF015C12
	v_mul_f32_dpp v153, v18, v153 row_newbcast:13 row_mask:0xf bank_mask:0xf// 0000000065F0: 0B3332FA FF015D12
	v_mul_f32_dpp v154, v18, v154 row_newbcast:14 row_mask:0xf bank_mask:0xf// 0000000065F8: 0B3534FA FF015E12
	v_mul_f32_dpp v155, v18, v155 row_newbcast:15 row_mask:0xf bank_mask:0xf// 000000006600: 0B3736FA FF015F12
	v_mul_f32_dpp v156, v18, v156 row_newbcast:12 row_mask:0xf bank_mask:0xf// 000000006608: 0B3938FA FF015C12
	v_mul_f32_dpp v157, v18, v157 row_newbcast:13 row_mask:0xf bank_mask:0xf// 000000006610: 0B3B3AFA FF015D12
	v_mul_f32_dpp v158, v18, v158 row_newbcast:14 row_mask:0xf bank_mask:0xf// 000000006618: 0B3D3CFA FF015E12
	v_mul_f32_dpp v159, v18, v159 row_newbcast:15 row_mask:0xf bank_mask:0xf// 000000006620: 0B3F3EFA FF015F12
	v_mul_f32_dpp v160, v19, v160 row_newbcast:0 row_mask:0xf bank_mask:0xf// 000000006628: 0B4140FA FF015013
	v_mul_f32_dpp v161, v19, v161 row_newbcast:1 row_mask:0xf bank_mask:0xf// 000000006630: 0B4342FA FF015113
	v_mul_f32_dpp v162, v19, v162 row_newbcast:2 row_mask:0xf bank_mask:0xf// 000000006638: 0B4544FA FF015213
	v_mul_f32_dpp v163, v19, v163 row_newbcast:3 row_mask:0xf bank_mask:0xf// 000000006640: 0B4746FA FF015313
	v_mul_f32_dpp v164, v19, v164 row_newbcast:0 row_mask:0xf bank_mask:0xf// 000000006648: 0B4948FA FF015013
	v_mul_f32_dpp v165, v19, v165 row_newbcast:1 row_mask:0xf bank_mask:0xf// 000000006650: 0B4B4AFA FF015113
	v_mul_f32_dpp v166, v19, v166 row_newbcast:2 row_mask:0xf bank_mask:0xf// 000000006658: 0B4D4CFA FF015213
	v_mul_f32_dpp v167, v19, v167 row_newbcast:3 row_mask:0xf bank_mask:0xf// 000000006660: 0B4F4EFA FF015313
	v_mul_f32_dpp v168, v19, v168 row_newbcast:4 row_mask:0xf bank_mask:0xf// 000000006668: 0B5150FA FF015413
	v_mul_f32_dpp v169, v19, v169 row_newbcast:5 row_mask:0xf bank_mask:0xf// 000000006670: 0B5352FA FF015513
	v_mul_f32_dpp v170, v19, v170 row_newbcast:6 row_mask:0xf bank_mask:0xf// 000000006678: 0B5554FA FF015613
	v_mul_f32_dpp v171, v19, v171 row_newbcast:7 row_mask:0xf bank_mask:0xf// 000000006680: 0B5756FA FF015713
	v_mul_f32_dpp v172, v19, v172 row_newbcast:4 row_mask:0xf bank_mask:0xf// 000000006688: 0B5958FA FF015413
	v_mul_f32_dpp v173, v19, v173 row_newbcast:5 row_mask:0xf bank_mask:0xf// 000000006690: 0B5B5AFA FF015513
	v_mul_f32_dpp v174, v19, v174 row_newbcast:6 row_mask:0xf bank_mask:0xf// 000000006698: 0B5D5CFA FF015613
	v_mul_f32_dpp v175, v19, v175 row_newbcast:7 row_mask:0xf bank_mask:0xf// 0000000066A0: 0B5F5EFA FF015713
	v_mul_f32_dpp v176, v19, v176 row_newbcast:8 row_mask:0xf bank_mask:0xf// 0000000066A8: 0B6160FA FF015813
	v_mul_f32_dpp v177, v19, v177 row_newbcast:9 row_mask:0xf bank_mask:0xf// 0000000066B0: 0B6362FA FF015913
	v_mul_f32_dpp v178, v19, v178 row_newbcast:10 row_mask:0xf bank_mask:0xf// 0000000066B8: 0B6564FA FF015A13
	v_mul_f32_dpp v179, v19, v179 row_newbcast:11 row_mask:0xf bank_mask:0xf// 0000000066C0: 0B6766FA FF015B13
	v_mul_f32_dpp v180, v19, v180 row_newbcast:8 row_mask:0xf bank_mask:0xf// 0000000066C8: 0B6968FA FF015813
	v_mul_f32_dpp v181, v19, v181 row_newbcast:9 row_mask:0xf bank_mask:0xf// 0000000066D0: 0B6B6AFA FF015913
	v_mul_f32_dpp v182, v19, v182 row_newbcast:10 row_mask:0xf bank_mask:0xf// 0000000066D8: 0B6D6CFA FF015A13
	v_mul_f32_dpp v183, v19, v183 row_newbcast:11 row_mask:0xf bank_mask:0xf// 0000000066E0: 0B6F6EFA FF015B13
	v_mul_f32_dpp v184, v19, v184 row_newbcast:12 row_mask:0xf bank_mask:0xf// 0000000066E8: 0B7170FA FF015C13
	v_mul_f32_dpp v185, v19, v185 row_newbcast:13 row_mask:0xf bank_mask:0xf// 0000000066F0: 0B7372FA FF015D13
	v_mul_f32_dpp v186, v19, v186 row_newbcast:14 row_mask:0xf bank_mask:0xf// 0000000066F8: 0B7574FA FF015E13
	v_mul_f32_dpp v187, v19, v187 row_newbcast:15 row_mask:0xf bank_mask:0xf// 000000006700: 0B7776FA FF015F13
	v_mul_f32_dpp v188, v19, v188 row_newbcast:12 row_mask:0xf bank_mask:0xf// 000000006708: 0B7978FA FF015C13
	v_mul_f32_dpp v189, v19, v189 row_newbcast:13 row_mask:0xf bank_mask:0xf// 000000006710: 0B7B7AFA FF015D13
	v_mul_f32_dpp v190, v19, v190 row_newbcast:14 row_mask:0xf bank_mask:0xf// 000000006718: 0B7D7CFA FF015E13
	v_mul_f32_dpp v191, v19, v191 row_newbcast:15 row_mask:0xf bank_mask:0xf// 000000006720: 0B7F7EFA FF015F13
	buffer_load_dword v12, v5, s[16:19], 0 offen               // 000000006728: E0501000 80040C05
	v_mov_b32_e32 v22, 0x358637bd                              // 000000006730: 7E2C02FF 358637BD
	v_mov_b32_e32 v23, 0x358637bd                              // 000000006738: 7E2E02FF 358637BD
	v_max3_f32 v22, |v128|, |v129|, v22                        // 000000006740: D1D30316 045B0380
	v_max3_f32 v22, |v130|, |v131|, v22                        // 000000006748: D1D30316 045B0782
	v_max3_f32 v23, |v132|, |v133|, v23                        // 000000006750: D1D30317 045F0B84
	v_max3_f32 v23, |v134|, |v135|, v23                        // 000000006758: D1D30317 045F0F86
	v_max3_f32 v22, |v136|, |v137|, v22                        // 000000006760: D1D30316 045B1388
	v_max3_f32 v22, |v138|, |v139|, v22                        // 000000006768: D1D30316 045B178A
	v_max3_f32 v23, |v140|, |v141|, v23                        // 000000006770: D1D30317 045F1B8C
	v_max3_f32 v23, |v142|, |v143|, v23                        // 000000006778: D1D30317 045F1F8E
	v_max3_f32 v22, |v144|, |v145|, v22                        // 000000006780: D1D30316 045B2390
	v_max3_f32 v22, |v146|, |v147|, v22                        // 000000006788: D1D30316 045B2792
	v_max3_f32 v23, |v148|, |v149|, v23                        // 000000006790: D1D30317 045F2B94
	v_max3_f32 v23, |v150|, |v151|, v23                        // 000000006798: D1D30317 045F2F96
	v_max3_f32 v22, |v152|, |v153|, v22                        // 0000000067A0: D1D30316 045B3398
	v_max3_f32 v22, |v154|, |v155|, v22                        // 0000000067A8: D1D30316 045B379A
	v_max3_f32 v23, |v156|, |v157|, v23                        // 0000000067B0: D1D30317 045F3B9C
	v_max3_f32 v23, |v158|, |v159|, v23                        // 0000000067B8: D1D30317 045F3F9E
	v_max3_f32 v22, |v160|, |v161|, v22                        // 0000000067C0: D1D30316 045B43A0
	v_max3_f32 v22, |v162|, |v163|, v22                        // 0000000067C8: D1D30316 045B47A2
	v_max3_f32 v23, |v164|, |v165|, v23                        // 0000000067D0: D1D30317 045F4BA4
	v_max3_f32 v23, |v166|, |v167|, v23                        // 0000000067D8: D1D30317 045F4FA6
	v_max3_f32 v22, |v168|, |v169|, v22                        // 0000000067E0: D1D30316 045B53A8
	v_max3_f32 v22, |v170|, |v171|, v22                        // 0000000067E8: D1D30316 045B57AA
	v_max3_f32 v23, |v172|, |v173|, v23                        // 0000000067F0: D1D30317 045F5BAC
	v_max3_f32 v23, |v174|, |v175|, v23                        // 0000000067F8: D1D30317 045F5FAE
	v_max3_f32 v22, |v176|, |v177|, v22                        // 000000006800: D1D30316 045B63B0
	v_max3_f32 v22, |v178|, |v179|, v22                        // 000000006808: D1D30316 045B67B2
	v_max3_f32 v23, |v180|, |v181|, v23                        // 000000006810: D1D30317 045F6BB4
	v_max3_f32 v23, |v182|, |v183|, v23                        // 000000006818: D1D30317 045F6FB6
	v_max3_f32 v22, |v184|, |v185|, v22                        // 000000006820: D1D30316 045B73B8
	v_max3_f32 v22, |v186|, |v187|, v22                        // 000000006828: D1D30316 045B77BA
	v_max3_f32 v23, |v188|, |v189|, v23                        // 000000006830: D1D30317 045F7BBC
	v_max3_f32 v23, |v190|, |v191|, v23                        // 000000006838: D1D30317 045F7FBE
	v_lshlrev_b32_e32 v44, 3, v0                               // 000000006840: 24580083
	s_mul_i32 s60, 0x200, s5                                   // 000000006844: 923C05FF 00000200
	v_add_u32_e32 v44, s60, v44                                // 00000000684C: 6858583C
	ds_write_b64 v44, v[22:23]                                 // 000000006850: D89A0000 0000162C
	s_waitcnt lgkmcnt(0)                                       // 000000006858: BF8CC07F
	s_barrier                                                  // 00000000685C: BF8A0000
	v_and_b32_e32 v44, 15, v0                                  // 000000006860: 2658008F
	v_lshlrev_b32_e32 v44, 3, v44                              // 000000006864: 24585883
	ds_read_b64 v[96:97], v44                                  // 000000006868: D8EC0000 6000002C
	ds_read_b64 v[98:99], v44 offset:128                       // 000000006870: D8EC0080 6200002C
	ds_read_b64 v[100:101], v44 offset:256                     // 000000006878: D8EC0100 6400002C
	ds_read_b64 v[102:103], v44 offset:384                     // 000000006880: D8EC0180 6600002C
	ds_read_b64 v[104:105], v44 offset:512                     // 000000006888: D8EC0200 6800002C
	ds_read_b64 v[106:107], v44 offset:640                     // 000000006890: D8EC0280 6A00002C
	ds_read_b64 v[108:109], v44 offset:768                     // 000000006898: D8EC0300 6C00002C
	ds_read_b64 v[110:111], v44 offset:896                     // 0000000068A0: D8EC0380 6E00002C
	ds_read_b64 v[112:113], v44 offset:1024                    // 0000000068A8: D8EC0400 7000002C
	ds_read_b64 v[114:115], v44 offset:1152                    // 0000000068B0: D8EC0480 7200002C
	ds_read_b64 v[116:117], v44 offset:1280                    // 0000000068B8: D8EC0500 7400002C
	ds_read_b64 v[118:119], v44 offset:1408                    // 0000000068C0: D8EC0580 7600002C
	ds_read_b64 v[120:121], v44 offset:1536                    // 0000000068C8: D8EC0600 7800002C
	ds_read_b64 v[122:123], v44 offset:1664                    // 0000000068D0: D8EC0680 7A00002C
	ds_read_b64 v[124:125], v44 offset:1792                    // 0000000068D8: D8EC0700 7C00002C
	ds_read_b64 v[126:127], v44 offset:1920                    // 0000000068E0: D8EC0780 7E00002C
	s_waitcnt lgkmcnt(0)                                       // 0000000068E8: BF8CC07F
	v_max3_f32 v22, |v96|, |v98|, v22                          // 0000000068EC: D1D30316 045AC560
	v_max3_f32 v23, |v97|, |v99|, v23                          // 0000000068F4: D1D30317 045EC761
	v_max3_f32 v22, |v100|, |v102|, v22                        // 0000000068FC: D1D30316 045ACD64
	v_max3_f32 v23, |v101|, |v103|, v23                        // 000000006904: D1D30317 045ECF65
	v_max3_f32 v22, |v104|, |v106|, v22                        // 00000000690C: D1D30316 045AD568
	v_max3_f32 v23, |v105|, |v107|, v23                        // 000000006914: D1D30317 045ED769
	v_max3_f32 v22, |v108|, |v110|, v22                        // 00000000691C: D1D30316 045ADD6C
	v_max3_f32 v23, |v109|, |v111|, v23                        // 000000006924: D1D30317 045EDF6D
	v_max3_f32 v22, |v112|, |v114|, v22                        // 00000000692C: D1D30316 045AE570
	v_max3_f32 v23, |v113|, |v115|, v23                        // 000000006934: D1D30317 045EE771
	v_max3_f32 v22, |v116|, |v118|, v22                        // 00000000693C: D1D30316 045AED74
	v_max3_f32 v23, |v117|, |v119|, v23                        // 000000006944: D1D30317 045EEF75
	v_max3_f32 v22, |v120|, |v122|, v22                        // 00000000694C: D1D30316 045AF578
	v_max3_f32 v23, |v121|, |v123|, v23                        // 000000006954: D1D30317 045EF779
	v_max3_f32 v22, |v124|, |v126|, v22                        // 00000000695C: D1D30316 045AFD7C
	v_max3_f32 v23, |v125|, |v127|, v23                        // 000000006964: D1D30317 045EFF7D
	v_rcp_f32_e32 v22, v22                                     // 00000000696C: 7E2C4516
	v_rcp_f32_e32 v23, v23                                     // 000000006970: 7E2E4517
	v_mul_f32_e32 v22, 0x42fe0000, v22                         // 000000006974: 0A2C2CFF 42FE0000
	v_mul_f32_e32 v23, 0x42fe0000, v23                         // 00000000697C: 0A2E2EFF 42FE0000
	v_mul_f32_e32 v128, v22, v128                              // 000000006984: 0B010116
	v_mul_f32_e32 v129, v22, v129                              // 000000006988: 0B030316
	v_mul_f32_e32 v130, v22, v130                              // 00000000698C: 0B050516
	v_mul_f32_e32 v131, v22, v131                              // 000000006990: 0B070716
	v_cvt_i32_f32_e32 v128, v128                               // 000000006994: 7F001180
	v_cvt_i32_f32_e32 v129, v129                               // 000000006998: 7F021181
	v_cvt_i32_f32_e32 v130, v130                               // 00000000699C: 7F041182
	v_cvt_i32_f32_e32 v131, v131                               // 0000000069A0: 7F061183
	v_perm_b32 v128, v129, v128, s53                           // 0000000069A4: D1ED0080 00D70181
	v_perm_b32 v128, v130, v128, s54                           // 0000000069AC: D1ED0080 00DB0182
	v_perm_b32 v128, v131, v128, s55                           // 0000000069B4: D1ED0080 00DF0183
	v_mul_f32_e32 v132, v23, v132                              // 0000000069BC: 0B090917
	v_mul_f32_e32 v133, v23, v133                              // 0000000069C0: 0B0B0B17
	v_mul_f32_e32 v134, v23, v134                              // 0000000069C4: 0B0D0D17
	v_mul_f32_e32 v135, v23, v135                              // 0000000069C8: 0B0F0F17
	v_cvt_i32_f32_e32 v132, v132                               // 0000000069CC: 7F081184
	v_cvt_i32_f32_e32 v133, v133                               // 0000000069D0: 7F0A1185
	v_cvt_i32_f32_e32 v134, v134                               // 0000000069D4: 7F0C1186
	v_cvt_i32_f32_e32 v135, v135                               // 0000000069D8: 7F0E1187
	v_perm_b32 v129, v133, v132, s53                           // 0000000069DC: D1ED0081 00D70985
	v_perm_b32 v129, v134, v129, s54                           // 0000000069E4: D1ED0081 00DB0386
	v_perm_b32 v129, v135, v129, s55                           // 0000000069EC: D1ED0081 00DF0387
	v_mul_f32_e32 v136, v22, v136                              // 0000000069F4: 0B111116
	v_mul_f32_e32 v137, v22, v137                              // 0000000069F8: 0B131316
	v_mul_f32_e32 v138, v22, v138                              // 0000000069FC: 0B151516
	v_mul_f32_e32 v139, v22, v139                              // 000000006A00: 0B171716
	v_cvt_i32_f32_e32 v136, v136                               // 000000006A04: 7F101188
	v_cvt_i32_f32_e32 v137, v137                               // 000000006A08: 7F121189
	v_cvt_i32_f32_e32 v138, v138                               // 000000006A0C: 7F14118A
	v_cvt_i32_f32_e32 v139, v139                               // 000000006A10: 7F16118B
	v_perm_b32 v130, v137, v136, s53                           // 000000006A14: D1ED0082 00D71189
	v_perm_b32 v130, v138, v130, s54                           // 000000006A1C: D1ED0082 00DB058A
	v_perm_b32 v130, v139, v130, s55                           // 000000006A24: D1ED0082 00DF058B
	v_mul_f32_e32 v140, v23, v140                              // 000000006A2C: 0B191917
	v_mul_f32_e32 v141, v23, v141                              // 000000006A30: 0B1B1B17
	v_mul_f32_e32 v142, v23, v142                              // 000000006A34: 0B1D1D17
	v_mul_f32_e32 v143, v23, v143                              // 000000006A38: 0B1F1F17
	v_cvt_i32_f32_e32 v140, v140                               // 000000006A3C: 7F18118C
	v_cvt_i32_f32_e32 v141, v141                               // 000000006A40: 7F1A118D
	v_cvt_i32_f32_e32 v142, v142                               // 000000006A44: 7F1C118E
	v_cvt_i32_f32_e32 v143, v143                               // 000000006A48: 7F1E118F
	v_perm_b32 v131, v141, v140, s53                           // 000000006A4C: D1ED0083 00D7198D
	v_perm_b32 v131, v142, v131, s54                           // 000000006A54: D1ED0083 00DB078E
	v_perm_b32 v131, v143, v131, s55                           // 000000006A5C: D1ED0083 00DF078F
	v_mul_f32_e32 v144, v22, v144                              // 000000006A64: 0B212116
	v_mul_f32_e32 v145, v22, v145                              // 000000006A68: 0B232316
	v_mul_f32_e32 v146, v22, v146                              // 000000006A6C: 0B252516
	v_mul_f32_e32 v147, v22, v147                              // 000000006A70: 0B272716
	v_cvt_i32_f32_e32 v144, v144                               // 000000006A74: 7F201190
	v_cvt_i32_f32_e32 v145, v145                               // 000000006A78: 7F221191
	v_cvt_i32_f32_e32 v146, v146                               // 000000006A7C: 7F241192
	v_cvt_i32_f32_e32 v147, v147                               // 000000006A80: 7F261193
	v_perm_b32 v132, v145, v144, s53                           // 000000006A84: D1ED0084 00D72191
	v_perm_b32 v132, v146, v132, s54                           // 000000006A8C: D1ED0084 00DB0992
	v_perm_b32 v132, v147, v132, s55                           // 000000006A94: D1ED0084 00DF0993
	v_mul_f32_e32 v148, v23, v148                              // 000000006A9C: 0B292917
	v_mul_f32_e32 v149, v23, v149                              // 000000006AA0: 0B2B2B17
	v_mul_f32_e32 v150, v23, v150                              // 000000006AA4: 0B2D2D17
	v_mul_f32_e32 v151, v23, v151                              // 000000006AA8: 0B2F2F17
	v_cvt_i32_f32_e32 v148, v148                               // 000000006AAC: 7F281194
	v_cvt_i32_f32_e32 v149, v149                               // 000000006AB0: 7F2A1195
	v_cvt_i32_f32_e32 v150, v150                               // 000000006AB4: 7F2C1196
	v_cvt_i32_f32_e32 v151, v151                               // 000000006AB8: 7F2E1197
	v_perm_b32 v133, v149, v148, s53                           // 000000006ABC: D1ED0085 00D72995
	v_perm_b32 v133, v150, v133, s54                           // 000000006AC4: D1ED0085 00DB0B96
	v_perm_b32 v133, v151, v133, s55                           // 000000006ACC: D1ED0085 00DF0B97
	v_mul_f32_e32 v152, v22, v152                              // 000000006AD4: 0B313116
	v_mul_f32_e32 v153, v22, v153                              // 000000006AD8: 0B333316
	v_mul_f32_e32 v154, v22, v154                              // 000000006ADC: 0B353516
	v_mul_f32_e32 v155, v22, v155                              // 000000006AE0: 0B373716
	v_cvt_i32_f32_e32 v152, v152                               // 000000006AE4: 7F301198
	v_cvt_i32_f32_e32 v153, v153                               // 000000006AE8: 7F321199
	v_cvt_i32_f32_e32 v154, v154                               // 000000006AEC: 7F34119A
	v_cvt_i32_f32_e32 v155, v155                               // 000000006AF0: 7F36119B
	v_perm_b32 v134, v153, v152, s53                           // 000000006AF4: D1ED0086 00D73199
	v_perm_b32 v134, v154, v134, s54                           // 000000006AFC: D1ED0086 00DB0D9A
	v_perm_b32 v134, v155, v134, s55                           // 000000006B04: D1ED0086 00DF0D9B
	v_mul_f32_e32 v156, v23, v156                              // 000000006B0C: 0B393917
	v_mul_f32_e32 v157, v23, v157                              // 000000006B10: 0B3B3B17
	v_mul_f32_e32 v158, v23, v158                              // 000000006B14: 0B3D3D17
	v_mul_f32_e32 v159, v23, v159                              // 000000006B18: 0B3F3F17
	v_cvt_i32_f32_e32 v156, v156                               // 000000006B1C: 7F38119C
	v_cvt_i32_f32_e32 v157, v157                               // 000000006B20: 7F3A119D
	v_cvt_i32_f32_e32 v158, v158                               // 000000006B24: 7F3C119E
	v_cvt_i32_f32_e32 v159, v159                               // 000000006B28: 7F3E119F
	v_perm_b32 v135, v157, v156, s53                           // 000000006B2C: D1ED0087 00D7399D
	v_perm_b32 v135, v158, v135, s54                           // 000000006B34: D1ED0087 00DB0F9E
	v_perm_b32 v135, v159, v135, s55                           // 000000006B3C: D1ED0087 00DF0F9F
	v_mul_f32_e32 v160, v22, v160                              // 000000006B44: 0B414116
	v_mul_f32_e32 v161, v22, v161                              // 000000006B48: 0B434316
	v_mul_f32_e32 v162, v22, v162                              // 000000006B4C: 0B454516
	v_mul_f32_e32 v163, v22, v163                              // 000000006B50: 0B474716
	v_cvt_i32_f32_e32 v160, v160                               // 000000006B54: 7F4011A0
	v_cvt_i32_f32_e32 v161, v161                               // 000000006B58: 7F4211A1
	v_cvt_i32_f32_e32 v162, v162                               // 000000006B5C: 7F4411A2
	v_cvt_i32_f32_e32 v163, v163                               // 000000006B60: 7F4611A3
	v_perm_b32 v136, v161, v160, s53                           // 000000006B64: D1ED0088 00D741A1
	v_perm_b32 v136, v162, v136, s54                           // 000000006B6C: D1ED0088 00DB11A2
	v_perm_b32 v136, v163, v136, s55                           // 000000006B74: D1ED0088 00DF11A3
	v_mul_f32_e32 v164, v23, v164                              // 000000006B7C: 0B494917
	v_mul_f32_e32 v165, v23, v165                              // 000000006B80: 0B4B4B17
	v_mul_f32_e32 v166, v23, v166                              // 000000006B84: 0B4D4D17
	v_mul_f32_e32 v167, v23, v167                              // 000000006B88: 0B4F4F17
	v_cvt_i32_f32_e32 v164, v164                               // 000000006B8C: 7F4811A4
	v_cvt_i32_f32_e32 v165, v165                               // 000000006B90: 7F4A11A5
	v_cvt_i32_f32_e32 v166, v166                               // 000000006B94: 7F4C11A6
	v_cvt_i32_f32_e32 v167, v167                               // 000000006B98: 7F4E11A7
	v_perm_b32 v137, v165, v164, s53                           // 000000006B9C: D1ED0089 00D749A5
	v_perm_b32 v137, v166, v137, s54                           // 000000006BA4: D1ED0089 00DB13A6
	v_perm_b32 v137, v167, v137, s55                           // 000000006BAC: D1ED0089 00DF13A7
	v_mul_f32_e32 v168, v22, v168                              // 000000006BB4: 0B515116
	v_mul_f32_e32 v169, v22, v169                              // 000000006BB8: 0B535316
	v_mul_f32_e32 v170, v22, v170                              // 000000006BBC: 0B555516
	v_mul_f32_e32 v171, v22, v171                              // 000000006BC0: 0B575716
	v_cvt_i32_f32_e32 v168, v168                               // 000000006BC4: 7F5011A8
	v_cvt_i32_f32_e32 v169, v169                               // 000000006BC8: 7F5211A9
	v_cvt_i32_f32_e32 v170, v170                               // 000000006BCC: 7F5411AA
	v_cvt_i32_f32_e32 v171, v171                               // 000000006BD0: 7F5611AB
	v_perm_b32 v138, v169, v168, s53                           // 000000006BD4: D1ED008A 00D751A9
	v_perm_b32 v138, v170, v138, s54                           // 000000006BDC: D1ED008A 00DB15AA
	v_perm_b32 v138, v171, v138, s55                           // 000000006BE4: D1ED008A 00DF15AB
	v_mul_f32_e32 v172, v23, v172                              // 000000006BEC: 0B595917
	v_mul_f32_e32 v173, v23, v173                              // 000000006BF0: 0B5B5B17
	v_mul_f32_e32 v174, v23, v174                              // 000000006BF4: 0B5D5D17
	v_mul_f32_e32 v175, v23, v175                              // 000000006BF8: 0B5F5F17
	v_cvt_i32_f32_e32 v172, v172                               // 000000006BFC: 7F5811AC
	v_cvt_i32_f32_e32 v173, v173                               // 000000006C00: 7F5A11AD
	v_cvt_i32_f32_e32 v174, v174                               // 000000006C04: 7F5C11AE
	v_cvt_i32_f32_e32 v175, v175                               // 000000006C08: 7F5E11AF
	v_perm_b32 v139, v173, v172, s53                           // 000000006C0C: D1ED008B 00D759AD
	v_perm_b32 v139, v174, v139, s54                           // 000000006C14: D1ED008B 00DB17AE
	v_perm_b32 v139, v175, v139, s55                           // 000000006C1C: D1ED008B 00DF17AF
	v_mul_f32_e32 v176, v22, v176                              // 000000006C24: 0B616116
	v_mul_f32_e32 v177, v22, v177                              // 000000006C28: 0B636316
	v_mul_f32_e32 v178, v22, v178                              // 000000006C2C: 0B656516
	v_mul_f32_e32 v179, v22, v179                              // 000000006C30: 0B676716
	v_cvt_i32_f32_e32 v176, v176                               // 000000006C34: 7F6011B0
	v_cvt_i32_f32_e32 v177, v177                               // 000000006C38: 7F6211B1
	v_cvt_i32_f32_e32 v178, v178                               // 000000006C3C: 7F6411B2
	v_cvt_i32_f32_e32 v179, v179                               // 000000006C40: 7F6611B3
	v_perm_b32 v140, v177, v176, s53                           // 000000006C44: D1ED008C 00D761B1
	v_perm_b32 v140, v178, v140, s54                           // 000000006C4C: D1ED008C 00DB19B2
	v_perm_b32 v140, v179, v140, s55                           // 000000006C54: D1ED008C 00DF19B3
	v_mul_f32_e32 v180, v23, v180                              // 000000006C5C: 0B696917
	v_mul_f32_e32 v181, v23, v181                              // 000000006C60: 0B6B6B17
	v_mul_f32_e32 v182, v23, v182                              // 000000006C64: 0B6D6D17
	v_mul_f32_e32 v183, v23, v183                              // 000000006C68: 0B6F6F17
	v_cvt_i32_f32_e32 v180, v180                               // 000000006C6C: 7F6811B4
	v_cvt_i32_f32_e32 v181, v181                               // 000000006C70: 7F6A11B5
	v_cvt_i32_f32_e32 v182, v182                               // 000000006C74: 7F6C11B6
	v_cvt_i32_f32_e32 v183, v183                               // 000000006C78: 7F6E11B7
	v_perm_b32 v141, v181, v180, s53                           // 000000006C7C: D1ED008D 00D769B5
	v_perm_b32 v141, v182, v141, s54                           // 000000006C84: D1ED008D 00DB1BB6
	v_perm_b32 v141, v183, v141, s55                           // 000000006C8C: D1ED008D 00DF1BB7
	v_mul_f32_e32 v184, v22, v184                              // 000000006C94: 0B717116
	v_mul_f32_e32 v185, v22, v185                              // 000000006C98: 0B737316
	v_mul_f32_e32 v186, v22, v186                              // 000000006C9C: 0B757516
	v_mul_f32_e32 v187, v22, v187                              // 000000006CA0: 0B777716
	v_cvt_i32_f32_e32 v184, v184                               // 000000006CA4: 7F7011B8
	v_cvt_i32_f32_e32 v185, v185                               // 000000006CA8: 7F7211B9
	v_cvt_i32_f32_e32 v186, v186                               // 000000006CAC: 7F7411BA
	v_cvt_i32_f32_e32 v187, v187                               // 000000006CB0: 7F7611BB
	v_perm_b32 v142, v185, v184, s53                           // 000000006CB4: D1ED008E 00D771B9
	v_perm_b32 v142, v186, v142, s54                           // 000000006CBC: D1ED008E 00DB1DBA
	v_perm_b32 v142, v187, v142, s55                           // 000000006CC4: D1ED008E 00DF1DBB
	v_mul_f32_e32 v188, v23, v188                              // 000000006CCC: 0B797917
	v_mul_f32_e32 v189, v23, v189                              // 000000006CD0: 0B7B7B17
	v_mul_f32_e32 v190, v23, v190                              // 000000006CD4: 0B7D7D17
	v_mul_f32_e32 v191, v23, v191                              // 000000006CD8: 0B7F7F17
	v_cvt_i32_f32_e32 v188, v188                               // 000000006CDC: 7F7811BC
	v_cvt_i32_f32_e32 v189, v189                               // 000000006CE0: 7F7A11BD
	v_cvt_i32_f32_e32 v190, v190                               // 000000006CE4: 7F7C11BE
	v_cvt_i32_f32_e32 v191, v191                               // 000000006CE8: 7F7E11BF
	v_perm_b32 v143, v189, v188, s53                           // 000000006CEC: D1ED008F 00D779BD
	v_perm_b32 v143, v190, v143, s54                           // 000000006CF4: D1ED008F 00DB1FBE
	v_perm_b32 v143, v191, v143, s55                           // 000000006CFC: D1ED008F 00DF1FBF
	v_rcp_f32_e32 v24, v22                                     // 000000006D04: 7E304516
	v_rcp_f32_e32 v25, v23                                     // 000000006D08: 7E324517
	v_lshrrev_b32_e32 v44, 5, v0                               // 000000006D0C: 20580085
	v_lshlrev_b32_e32 v45, 5, v44                              // 000000006D10: 245A5885
	v_and_b32_e32 v44, 31, v0                                  // 000000006D14: 2658009F
	v_lshrrev_b32_e32 v46, 4, v44                              // 000000006D18: 205C5884
	v_add_u32_e32 v45, v46, v45                                // 000000006D1C: 685A5B2E
	v_and_b32_e32 v44, 15, v0                                  // 000000006D20: 2658008F
	v_lshlrev_b32_e32 v44, 1, v44                              // 000000006D24: 24585881
	v_add_u32_e32 v45, v44, v45                                // 000000006D28: 685A5B2C
	v_lshlrev_b32_e32 v44, 2, v45                              // 000000006D2C: 24585A82
	s_mul_i32 s60, 0x100, s5                                   // 000000006D30: 923C05FF 00000100
	v_add_u32_e64 v44, v44, s60                                // 000000006D38: D134002C 0000792C
	ds_write_b32 v44, v128 offset:2048                         // 000000006D40: D81A0800 0000802C
	ds_write_b32 v44, v129 offset:10240                        // 000000006D48: D81A2800 0000812C
	ds_write_b32 v44, v130 offset:3072                         // 000000006D50: D81A0C00 0000822C
	ds_write_b32 v44, v131 offset:11264                        // 000000006D58: D81A2C00 0000832C
	ds_write_b32 v44, v132 offset:4096                         // 000000006D60: D81A1000 0000842C
	ds_write_b32 v44, v133 offset:12288                        // 000000006D68: D81A3000 0000852C
	ds_write_b32 v44, v134 offset:5120                         // 000000006D70: D81A1400 0000862C
	ds_write_b32 v44, v135 offset:13312                        // 000000006D78: D81A3400 0000872C
	ds_write_b32 v44, v136 offset:6144                         // 000000006D80: D81A1800 0000882C
	ds_write_b32 v44, v137 offset:14336                        // 000000006D88: D81A3800 0000892C
	ds_write_b32 v44, v138 offset:7168                         // 000000006D90: D81A1C00 00008A2C
	ds_write_b32 v44, v139 offset:15360                        // 000000006D98: D81A3C00 00008B2C
	ds_write_b32 v44, v140 offset:8192                         // 000000006DA0: D81A2000 00008C2C
	ds_write_b32 v44, v141 offset:16384                        // 000000006DA8: D81A4000 00008D2C
	ds_write_b32 v44, v142 offset:9216                         // 000000006DB0: D81A2400 00008E2C
	ds_write_b32 v44, v143 offset:17408                        // 000000006DB8: D81A4400 00008F2C
	s_waitcnt lgkmcnt(0)                                       // 000000006DC0: BF8CC07F
	s_barrier                                                  // 000000006DC4: BF8A0000
	v_lshrrev_b32_e32 v44, 4, v0                               // 000000006DC8: 20580084
	v_lshlrev_b32_e32 v45, 6, v44                              // 000000006DCC: 245A5886
	v_and_b32_e32 v44, 15, v0                                  // 000000006DD0: 2658008F
	v_lshlrev_b32_e32 v44, 1, v44                              // 000000006DD4: 24585881
	v_add_u32_e32 v45, v44, v45                                // 000000006DD8: 685A5B2C
	v_lshlrev_b32_e32 v44, 2, v45                              // 000000006DDC: 24585A82
	ds_read_b64 v[128:129], v44 offset:2048                    // 000000006DE0: D8EC0800 8000002C
	ds_read_b64 v[130:131], v44 offset:2176                    // 000000006DE8: D8EC0880 8200002C
	ds_read_b64 v[132:133], v44 offset:3072                    // 000000006DF0: D8EC0C00 8400002C
	ds_read_b64 v[134:135], v44 offset:3200                    // 000000006DF8: D8EC0C80 8600002C
	ds_read_b64 v[136:137], v44 offset:4096                    // 000000006E00: D8EC1000 8800002C
	ds_read_b64 v[138:139], v44 offset:4224                    // 000000006E08: D8EC1080 8A00002C
	ds_read_b64 v[140:141], v44 offset:5120                    // 000000006E10: D8EC1400 8C00002C
	ds_read_b64 v[142:143], v44 offset:5248                    // 000000006E18: D8EC1480 8E00002C
	ds_read_b64 v[144:145], v44 offset:6144                    // 000000006E20: D8EC1800 9000002C
	ds_read_b64 v[146:147], v44 offset:6272                    // 000000006E28: D8EC1880 9200002C
	ds_read_b64 v[148:149], v44 offset:7168                    // 000000006E30: D8EC1C00 9400002C
	ds_read_b64 v[150:151], v44 offset:7296                    // 000000006E38: D8EC1C80 9600002C
	ds_read_b64 v[152:153], v44 offset:8192                    // 000000006E40: D8EC2000 9800002C
	ds_read_b64 v[154:155], v44 offset:8320                    // 000000006E48: D8EC2080 9A00002C
	ds_read_b64 v[156:157], v44 offset:9216                    // 000000006E50: D8EC2400 9C00002C
	ds_read_b64 v[158:159], v44 offset:9344                    // 000000006E58: D8EC2480 9E00002C
	ds_read_b64 v[160:161], v44 offset:10240                   // 000000006E60: D8EC2800 A000002C
	ds_read_b64 v[162:163], v44 offset:10368                   // 000000006E68: D8EC2880 A200002C
	ds_read_b64 v[164:165], v44 offset:11264                   // 000000006E70: D8EC2C00 A400002C
	ds_read_b64 v[166:167], v44 offset:11392                   // 000000006E78: D8EC2C80 A600002C
	ds_read_b64 v[168:169], v44 offset:12288                   // 000000006E80: D8EC3000 A800002C
	ds_read_b64 v[170:171], v44 offset:12416                   // 000000006E88: D8EC3080 AA00002C
	ds_read_b64 v[172:173], v44 offset:13312                   // 000000006E90: D8EC3400 AC00002C
	ds_read_b64 v[174:175], v44 offset:13440                   // 000000006E98: D8EC3480 AE00002C
	ds_read_b64 v[176:177], v44 offset:14336                   // 000000006EA0: D8EC3800 B000002C
	ds_read_b64 v[178:179], v44 offset:14464                   // 000000006EA8: D8EC3880 B200002C
	ds_read_b64 v[180:181], v44 offset:15360                   // 000000006EB0: D8EC3C00 B400002C
	ds_read_b64 v[182:183], v44 offset:15488                   // 000000006EB8: D8EC3C80 B600002C
	ds_read_b64 v[184:185], v44 offset:16384                   // 000000006EC0: D8EC4000 B800002C
	ds_read_b64 v[186:187], v44 offset:16512                   // 000000006EC8: D8EC4080 BA00002C
	ds_read_b64 v[188:189], v44 offset:17408                   // 000000006ED0: D8EC4400 BC00002C
	ds_read_b64 v[190:191], v44 offset:17536                   // 000000006ED8: D8EC4480 BE00002C
	s_add_u32 s12, s56, s12                                    // 000000006EE0: 800C0C38
	s_addc_u32 s13, 0, s13                                     // 000000006EE4: 820D0D80
	s_add_u32 s16, s79, s16                                    // 000000006EE8: 8010104F
	s_addc_u32 s17, 0, s17                                     // 000000006EEC: 82111180
	s_waitcnt lgkmcnt(0)                                       // 000000006EF0: BF8CC07F
	s_barrier                                                  // 000000006EF4: BF8A0000
	v_mov_b32_e32 v192, 0                                      // 000000006EF8: 7F800280
	v_mov_b32_e32 v224, 0                                      // 000000006EFC: 7FC00280
	v_mov_b32_e32 v193, 0                                      // 000000006F00: 7F820280
	v_mov_b32_e32 v225, 0                                      // 000000006F04: 7FC20280
	v_mov_b32_e32 v194, 0                                      // 000000006F08: 7F840280
	v_mov_b32_e32 v226, 0                                      // 000000006F0C: 7FC40280
	v_mov_b32_e32 v195, 0                                      // 000000006F10: 7F860280
	v_mov_b32_e32 v227, 0                                      // 000000006F14: 7FC60280
	v_mov_b32_e32 v196, 0                                      // 000000006F18: 7F880280
	v_mov_b32_e32 v228, 0                                      // 000000006F1C: 7FC80280
	v_mov_b32_e32 v197, 0                                      // 000000006F20: 7F8A0280
	v_mov_b32_e32 v229, 0                                      // 000000006F24: 7FCA0280
	v_mov_b32_e32 v198, 0                                      // 000000006F28: 7F8C0280
	v_mov_b32_e32 v230, 0                                      // 000000006F2C: 7FCC0280
	v_mov_b32_e32 v199, 0                                      // 000000006F30: 7F8E0280
	v_mov_b32_e32 v231, 0                                      // 000000006F34: 7FCE0280
	v_mov_b32_e32 v200, 0                                      // 000000006F38: 7F900280
	v_mov_b32_e32 v232, 0                                      // 000000006F3C: 7FD00280
	v_mov_b32_e32 v201, 0                                      // 000000006F40: 7F920280
	v_mov_b32_e32 v233, 0                                      // 000000006F44: 7FD20280
	v_mov_b32_e32 v202, 0                                      // 000000006F48: 7F940280
	v_mov_b32_e32 v234, 0                                      // 000000006F4C: 7FD40280
	v_mov_b32_e32 v203, 0                                      // 000000006F50: 7F960280
	v_mov_b32_e32 v235, 0                                      // 000000006F54: 7FD60280
	v_mov_b32_e32 v204, 0                                      // 000000006F58: 7F980280
	v_mov_b32_e32 v236, 0                                      // 000000006F5C: 7FD80280
	v_mov_b32_e32 v205, 0                                      // 000000006F60: 7F9A0280
	v_mov_b32_e32 v237, 0                                      // 000000006F64: 7FDA0280
	v_mov_b32_e32 v206, 0                                      // 000000006F68: 7F9C0280
	v_mov_b32_e32 v238, 0                                      // 000000006F6C: 7FDC0280
	v_mov_b32_e32 v207, 0                                      // 000000006F70: 7F9E0280
	v_mov_b32_e32 v239, 0                                      // 000000006F74: 7FDE0280
	v_lshlrev_b32_e32 v44, 2, v0                               // 000000006F78: 24580082
	s_mul_i32 s60, s86, s71                                    // 000000006F7C: 923C4756
	v_add_u32_e64 v80, v44, s60                                // 000000006F80: D1340050 0000792C
	v_mov_b32_e32 v81, 0                                       // 000000006F88: 7EA20280
	s_mul_i32 s60, s87, s71                                    // 000000006F8C: 923C4757
	v_add_u32_e64 v82, v44, s60                                // 000000006F90: D1340052 0000792C
	v_mov_b32_e32 v83, 0                                       // 000000006F98: 7EA60280
	s_mul_i32 s60, s88, s71                                    // 000000006F9C: 923C4758
	v_add_u32_e64 v84, v44, s60                                // 000000006FA0: D1340054 0000792C
	v_mov_b32_e32 v85, 0                                       // 000000006FA8: 7EAA0280
	s_mul_i32 s60, s89, s71                                    // 000000006FAC: 923C4759
	v_add_u32_e64 v86, v44, s60                                // 000000006FB0: D1340056 0000792C
	v_mov_b32_e32 v87, 0                                       // 000000006FB8: 7EAE0280
	s_mul_i32 s60, s90, s71                                    // 000000006FBC: 923C475A
	v_add_u32_e64 v88, v44, s60                                // 000000006FC0: D1340058 0000792C
	v_mov_b32_e32 v89, 0                                       // 000000006FC8: 7EB20280
	s_mul_i32 s60, s91, s71                                    // 000000006FCC: 923C475B
	v_add_u32_e64 v90, v44, s60                                // 000000006FD0: D134005A 0000792C
	v_mov_b32_e32 v91, 0                                       // 000000006FD8: 7EB60280
	s_mul_i32 s60, s92, s71                                    // 000000006FDC: 923C475C
	v_add_u32_e64 v92, v44, s60                                // 000000006FE0: D134005C 0000792C
	v_mov_b32_e32 v93, 0                                       // 000000006FE8: 7EBA0280
	s_mul_i32 s60, s93, s71                                    // 000000006FEC: 923C475D
	v_add_u32_e64 v94, v44, s60                                // 000000006FF0: D134005E 0000792C
	v_mov_b32_e32 v95, 0                                       // 000000006FF8: 7EBE0280
	ds_write_b64 v3, v[192:193] offset:18432                   // 000000006FFC: D89A4800 0000C003
	ds_write_b64 v3, v[194:195] offset:27136                   // 000000007004: D89A6A00 0000C203
	ds_write_b64 v3, v[196:197] offset:20608                   // 00000000700C: D89A5080 0000C403
	ds_write_b64 v3, v[198:199] offset:29312                   // 000000007014: D89A7280 0000C603
	ds_write_b64 v3, v[200:201] offset:22784                   // 00000000701C: D89A5900 0000C803
	ds_write_b64 v3, v[202:203] offset:31488                   // 000000007024: D89A7B00 0000CA03
	ds_write_b64 v3, v[204:205] offset:24960                   // 00000000702C: D89A6180 0000CC03
	ds_write_b64 v3, v[206:207] offset:33664                   // 000000007034: D89A8380 0000CE03
	s_mov_b32 s80, 0                                           // 00000000703C: BED00080
	s_waitcnt vmcnt(0) expcnt(0) lgkmcnt(0)                    // 000000007040: BF8C0000

0000000000007044 <label_1151>:
	s_waitcnt vmcnt(25) lgkmcnt(0)                             // 000000007044: BF8C4079
	s_barrier                                                  // 000000007048: BF8A0000
	v_mfma_i32_16x16x32_i8 v[192:195], a[0:1], v[128:129], 0   // 00000000704C: D3D700C0 0A030100
	ds_read_b32 v64, v4 offset:18432                           // 000000007054: D86C4800 40000004
	ds_read_b32 v65, v4 offset:22784                           // 00000000705C: D86C5900 41000004
	v_mfma_i32_16x16x32_i8 v[192:195], a[2:3], v[130:131], v[192:195]// 000000007064: D3D700C0 0F030502
	buffer_load_dwordx4 a[128:131], v48, s[12:15], 0 offen     // 00000000706C: E05C1000 80838030
	v_mfma_i32_16x16x32_i8 v[192:195], a[4:5], v[132:133], v[192:195]// 000000007074: D3D700C0 0F030904
	ds_read_b32 v66, v4 offset:18464                           // 00000000707C: D86C4820 42000004
	ds_read_b32 v67, v4 offset:22816                           // 000000007084: D86C5920 43000004
	v_mfma_i32_16x16x32_i8 v[192:195], a[6:7], v[134:135], v[192:195]// 00000000708C: D3D700C0 0F030D06
	v_mfma_i32_16x16x32_i8 v[192:195], a[8:9], v[136:137], v[192:195]// 000000007094: D3D700C0 0F031108
	ds_read_b32 v68, v4 offset:18496                           // 00000000709C: D86C4840 44000004
	ds_read_b32 v69, v4 offset:22848                           // 0000000070A4: D86C5940 45000004
	v_mfma_i32_16x16x32_i8 v[192:195], a[10:11], v[138:139], v[192:195]// 0000000070AC: D3D700C0 0F03150A
	buffer_load_dwordx4 a[132:135], v48, s[12:15], 0 offen offset:1024// 0000000070B4: E05C1400 80838430
	v_mfma_i32_16x16x32_i8 v[192:195], a[12:13], v[140:141], v[192:195]// 0000000070BC: D3D700C0 0F03190C
	ds_read_b32 v70, v4 offset:18528                           // 0000000070C4: D86C4860 46000004
	ds_read_b32 v71, v4 offset:22880                           // 0000000070CC: D86C5960 47000004
	v_mfma_i32_16x16x32_i8 v[192:195], a[14:15], v[142:143], v[192:195]// 0000000070D4: D3D700C0 0F031D0E
	v_mfma_i32_16x16x32_i8 v[196:199], a[0:1], v[160:161], 0   // 0000000070DC: D3D700C4 0A034100
	ds_read_b32 v72, v4 offset:27136                           // 0000000070E4: D86C6A00 48000004
	ds_read_b32 v73, v4 offset:31488                           // 0000000070EC: D86C7B00 49000004
	v_mfma_i32_16x16x32_i8 v[196:199], a[2:3], v[162:163], v[196:199]// 0000000070F4: D3D700C4 0F134502
	buffer_load_dwordx4 a[136:139], v48, s[12:15], 0 offen offset:2048// 0000000070FC: E05C1800 80838830
	v_mfma_i32_16x16x32_i8 v[196:199], a[4:5], v[164:165], v[196:199]// 000000007104: D3D700C4 0F134904
	ds_read_b32 v74, v4 offset:27168                           // 00000000710C: D86C6A20 4A000004
	ds_read_b32 v75, v4 offset:31520                           // 000000007114: D86C7B20 4B000004
	v_mfma_i32_16x16x32_i8 v[196:199], a[6:7], v[166:167], v[196:199]// 00000000711C: D3D700C4 0F134D06
	v_mfma_i32_16x16x32_i8 v[196:199], a[8:9], v[168:169], v[196:199]// 000000007124: D3D700C4 0F135108
	ds_read_b32 v76, v4 offset:27200                           // 00000000712C: D86C6A40 4C000004
	ds_read_b32 v77, v4 offset:31552                           // 000000007134: D86C7B40 4D000004
	v_mfma_i32_16x16x32_i8 v[196:199], a[10:11], v[170:171], v[196:199]// 00000000713C: D3D700C4 0F13550A
	buffer_load_dwordx4 a[140:143], v48, s[12:15], 0 offen offset:3072// 000000007144: E05C1C00 80838C30
	v_mfma_i32_16x16x32_i8 v[196:199], a[12:13], v[172:173], v[196:199]// 00000000714C: D3D700C4 0F13590C
	ds_read_b32 v78, v4 offset:27232                           // 000000007154: D86C6A60 4E000004
	ds_read_b32 v79, v4 offset:31584                           // 00000000715C: D86C7B60 4F000004
	v_mfma_i32_16x16x32_i8 v[196:199], a[14:15], v[174:175], v[196:199]// 000000007164: D3D700C4 0F135D0E
	v_mfma_i32_16x16x32_i8 v[200:203], a[16:17], v[128:129], 0 // 00000000716C: D3D700C8 0A030110
	v_mfma_i32_16x16x32_i8 v[200:203], a[18:19], v[130:131], v[200:203]// 000000007174: D3D700C8 0F230512
	buffer_load_dwordx4 a[144:147], v49, s[12:15], 0 offen     // 00000000717C: E05C1000 80839031
	v_mfma_i32_16x16x32_i8 v[200:203], a[20:21], v[132:133], v[200:203]// 000000007184: D3D700C8 0F230914
	v_mfma_i32_16x16x32_i8 v[200:203], a[22:23], v[134:135], v[200:203]// 00000000718C: D3D700C8 0F230D16
	v_mfma_i32_16x16x32_i8 v[200:203], a[24:25], v[136:137], v[200:203]// 000000007194: D3D700C8 0F231118
	v_mfma_i32_16x16x32_i8 v[200:203], a[26:27], v[138:139], v[200:203]// 00000000719C: D3D700C8 0F23151A
	buffer_load_dwordx4 a[148:151], v49, s[12:15], 0 offen offset:1024// 0000000071A4: E05C1400 80839431
	v_mfma_i32_16x16x32_i8 v[200:203], a[28:29], v[140:141], v[200:203]// 0000000071AC: D3D700C8 0F23191C
	v_mfma_i32_16x16x32_i8 v[200:203], a[30:31], v[142:143], v[200:203]// 0000000071B4: D3D700C8 0F231D1E
	v_mfma_i32_16x16x32_i8 v[204:207], a[16:17], v[160:161], 0 // 0000000071BC: D3D700CC 0A034110
	v_mfma_i32_16x16x32_i8 v[204:207], a[18:19], v[162:163], v[204:207]// 0000000071C4: D3D700CC 0F334512
	buffer_load_dwordx4 a[152:155], v49, s[12:15], 0 offen offset:2048// 0000000071CC: E05C1800 80839831
	v_mfma_i32_16x16x32_i8 v[204:207], a[20:21], v[164:165], v[204:207]// 0000000071D4: D3D700CC 0F334914
	v_mfma_i32_16x16x32_i8 v[204:207], a[22:23], v[166:167], v[204:207]// 0000000071DC: D3D700CC 0F334D16
	v_mfma_i32_16x16x32_i8 v[204:207], a[24:25], v[168:169], v[204:207]// 0000000071E4: D3D700CC 0F335118
	v_mfma_i32_16x16x32_i8 v[204:207], a[26:27], v[170:171], v[204:207]// 0000000071EC: D3D700CC 0F33551A
	buffer_load_dwordx4 a[156:159], v49, s[12:15], 0 offen offset:3072// 0000000071F4: E05C1C00 80839C31
	v_mfma_i32_16x16x32_i8 v[204:207], a[28:29], v[172:173], v[204:207]// 0000000071FC: D3D700CC 0F33591C
	v_mfma_i32_16x16x32_i8 v[204:207], a[30:31], v[174:175], v[204:207]// 000000007204: D3D700CC 0F335D1E
	s_waitcnt vmcnt(25)                                        // 00000000720C: BF8C4F79
	v_mfma_i32_16x16x32_i8 v[208:211], a[32:33], v[128:129], 0 // 000000007210: D3D700D0 0A030120
	v_mfma_i32_16x16x32_i8 v[208:211], a[34:35], v[130:131], v[208:211]// 000000007218: D3D700D0 0F430522
	buffer_load_dwordx4 a[160:163], v50, s[12:15], 0 offen     // 000000007220: E05C1000 8083A032
	v_mfma_i32_16x16x32_i8 v[208:211], a[36:37], v[132:133], v[208:211]// 000000007228: D3D700D0 0F430924
	v_mfma_i32_16x16x32_i8 v[208:211], a[38:39], v[134:135], v[208:211]// 000000007230: D3D700D0 0F430D26
	v_mfma_i32_16x16x32_i8 v[208:211], a[40:41], v[136:137], v[208:211]// 000000007238: D3D700D0 0F431128
	v_mfma_i32_16x16x32_i8 v[208:211], a[42:43], v[138:139], v[208:211]// 000000007240: D3D700D0 0F43152A
	buffer_load_dwordx4 a[164:167], v50, s[12:15], 0 offen offset:1024// 000000007248: E05C1400 8083A432
	v_mfma_i32_16x16x32_i8 v[208:211], a[44:45], v[140:141], v[208:211]// 000000007250: D3D700D0 0F43192C
	v_mfma_i32_16x16x32_i8 v[208:211], a[46:47], v[142:143], v[208:211]// 000000007258: D3D700D0 0F431D2E
	v_mfma_i32_16x16x32_i8 v[212:215], a[32:33], v[160:161], 0 // 000000007260: D3D700D4 0A034120
	v_mfma_i32_16x16x32_i8 v[212:215], a[34:35], v[162:163], v[212:215]// 000000007268: D3D700D4 0F534522
	buffer_load_dwordx4 a[168:171], v50, s[12:15], 0 offen offset:2048// 000000007270: E05C1800 8083A832
	v_mfma_i32_16x16x32_i8 v[212:215], a[36:37], v[164:165], v[212:215]// 000000007278: D3D700D4 0F534924
	v_mfma_i32_16x16x32_i8 v[212:215], a[38:39], v[166:167], v[212:215]// 000000007280: D3D700D4 0F534D26
	v_mfma_i32_16x16x32_i8 v[212:215], a[40:41], v[168:169], v[212:215]// 000000007288: D3D700D4 0F535128
	v_mfma_i32_16x16x32_i8 v[212:215], a[42:43], v[170:171], v[212:215]// 000000007290: D3D700D4 0F53552A
	buffer_load_dwordx4 a[172:175], v50, s[12:15], 0 offen offset:3072// 000000007298: E05C1C00 8083AC32
	v_mfma_i32_16x16x32_i8 v[212:215], a[44:45], v[172:173], v[212:215]// 0000000072A0: D3D700D4 0F53592C
	v_mfma_i32_16x16x32_i8 v[212:215], a[46:47], v[174:175], v[212:215]// 0000000072A8: D3D700D4 0F535D2E
	v_mfma_i32_16x16x32_i8 v[216:219], a[48:49], v[128:129], 0 // 0000000072B0: D3D700D8 0A030130
	v_mfma_i32_16x16x32_i8 v[216:219], a[50:51], v[130:131], v[216:219]// 0000000072B8: D3D700D8 0F630532
	buffer_load_dwordx4 a[176:179], v51, s[12:15], 0 offen     // 0000000072C0: E05C1000 8083B033
	v_mfma_i32_16x16x32_i8 v[216:219], a[52:53], v[132:133], v[216:219]// 0000000072C8: D3D700D8 0F630934
	v_mfma_i32_16x16x32_i8 v[216:219], a[54:55], v[134:135], v[216:219]// 0000000072D0: D3D700D8 0F630D36
	v_mfma_i32_16x16x32_i8 v[216:219], a[56:57], v[136:137], v[216:219]// 0000000072D8: D3D700D8 0F631138
	v_mfma_i32_16x16x32_i8 v[216:219], a[58:59], v[138:139], v[216:219]// 0000000072E0: D3D700D8 0F63153A
	buffer_load_dwordx4 a[180:183], v51, s[12:15], 0 offen offset:1024// 0000000072E8: E05C1400 8083B433
	v_mfma_i32_16x16x32_i8 v[216:219], a[60:61], v[140:141], v[216:219]// 0000000072F0: D3D700D8 0F63193C
	v_mfma_i32_16x16x32_i8 v[216:219], a[62:63], v[142:143], v[216:219]// 0000000072F8: D3D700D8 0F631D3E
	v_mfma_i32_16x16x32_i8 v[220:223], a[48:49], v[160:161], 0 // 000000007300: D3D700DC 0A034130
	v_mfma_i32_16x16x32_i8 v[220:223], a[50:51], v[162:163], v[220:223]// 000000007308: D3D700DC 0F734532
	buffer_load_dwordx4 a[184:187], v51, s[12:15], 0 offen offset:2048// 000000007310: E05C1800 8083B833
	v_mfma_i32_16x16x32_i8 v[220:223], a[52:53], v[164:165], v[220:223]// 000000007318: D3D700DC 0F734934
	v_mfma_i32_16x16x32_i8 v[220:223], a[54:55], v[166:167], v[220:223]// 000000007320: D3D700DC 0F734D36
	v_mfma_i32_16x16x32_i8 v[220:223], a[56:57], v[168:169], v[220:223]// 000000007328: D3D700DC 0F735138
	v_mfma_i32_16x16x32_i8 v[220:223], a[58:59], v[170:171], v[220:223]// 000000007330: D3D700DC 0F73553A
	buffer_load_dwordx4 a[188:191], v51, s[12:15], 0 offen offset:3072// 000000007338: E05C1C00 8083BC33
	s_add_u32 s12, s78, s12                                    // 000000007340: 800C0C4E
	s_addc_u32 s13, 0, s13                                     // 000000007344: 820D0D80
	v_mfma_i32_16x16x32_i8 v[220:223], a[60:61], v[172:173], v[220:223]// 000000007348: D3D700DC 0F73593C
	v_mfma_i32_16x16x32_i8 v[220:223], a[62:63], v[174:175], v[220:223]// 000000007350: D3D700DC 0F735D3E
	s_waitcnt vmcnt(25)                                        // 000000007358: BF8C4F79
	v_mfma_i32_16x16x32_i8 v[192:195], a[64:65], v[144:145], v[192:195]// 00000000735C: D3D700C0 0F032140
	ds_write_b64 v3, v[224:225] offset:35840                   // 000000007364: D89A8C00 0000E003
	v_mfma_i32_16x16x32_i8 v[192:195], a[66:67], v[146:147], v[192:195]// 00000000736C: D3D700C0 0F032542
	buffer_load_dwordx4 a[192:195], v48, s[12:15], 0 offen     // 000000007374: E05C1000 8083C030
	v_mfma_i32_16x16x32_i8 v[192:195], a[68:69], v[148:149], v[192:195]// 00000000737C: D3D700C0 0F032944
	ds_write_b64 v3, v[226:227] offset:44544                   // 000000007384: D89AAE00 0000E203
	v_mfma_i32_16x16x32_i8 v[192:195], a[70:71], v[150:151], v[192:195]// 00000000738C: D3D700C0 0F032D46
	v_mfma_i32_16x16x32_i8 v[192:195], a[72:73], v[152:153], v[192:195]// 000000007394: D3D700C0 0F033148
	ds_write_b64 v3, v[228:229] offset:38016                   // 00000000739C: D89A9480 0000E403
	v_mfma_i32_16x16x32_i8 v[192:195], a[74:75], v[154:155], v[192:195]// 0000000073A4: D3D700C0 0F03354A
	buffer_load_dwordx4 a[196:199], v48, s[12:15], 0 offen offset:1024// 0000000073AC: E05C1400 8083C430
	v_mfma_i32_16x16x32_i8 v[192:195], a[76:77], v[156:157], v[192:195]// 0000000073B4: D3D700C0 0F03394C
	ds_write_b64 v3, v[230:231] offset:46720                   // 0000000073BC: D89AB680 0000E603
	v_mfma_i32_16x16x32_i8 v[192:195], a[78:79], v[158:159], v[192:195]// 0000000073C4: D3D700C0 0F033D4E
	v_mfma_i32_16x16x32_i8 v[196:199], a[64:65], v[176:177], v[196:199]// 0000000073CC: D3D700C4 0F136140
	ds_write_b64 v3, v[232:233] offset:40192                   // 0000000073D4: D89A9D00 0000E803
	v_mfma_i32_16x16x32_i8 v[196:199], a[66:67], v[178:179], v[196:199]// 0000000073DC: D3D700C4 0F136542
	buffer_load_dwordx4 a[200:203], v48, s[12:15], 0 offen offset:2048// 0000000073E4: E05C1800 8083C830
	v_mfma_i32_16x16x32_i8 v[196:199], a[68:69], v[180:181], v[196:199]// 0000000073EC: D3D700C4 0F136944
	ds_write_b64 v3, v[234:235] offset:48896                   // 0000000073F4: D89ABF00 0000EA03
	v_mfma_i32_16x16x32_i8 v[196:199], a[70:71], v[182:183], v[196:199]// 0000000073FC: D3D700C4 0F136D46
	v_mfma_i32_16x16x32_i8 v[196:199], a[72:73], v[184:185], v[196:199]// 000000007404: D3D700C4 0F137148
	ds_write_b64 v3, v[236:237] offset:42368                   // 00000000740C: D89AA580 0000EC03
	v_mfma_i32_16x16x32_i8 v[196:199], a[74:75], v[186:187], v[196:199]// 000000007414: D3D700C4 0F13754A
	buffer_load_dwordx4 a[204:207], v48, s[12:15], 0 offen offset:3072// 00000000741C: E05C1C00 8083CC30
	v_mfma_i32_16x16x32_i8 v[196:199], a[76:77], v[188:189], v[196:199]// 000000007424: D3D700C4 0F13794C
	ds_write_b64 v3, v[238:239] offset:51072                   // 00000000742C: D89AC780 0000EE03
	v_mfma_i32_16x16x32_i8 v[196:199], a[78:79], v[190:191], v[196:199]// 000000007434: D3D700C4 0F137D4E
	v_mfma_i32_16x16x32_i8 v[200:203], a[80:81], v[144:145], v[200:203]// 00000000743C: D3D700C8 0F232150
	v_mfma_i32_16x16x32_i8 v[200:203], a[82:83], v[146:147], v[200:203]// 000000007444: D3D700C8 0F232552
	buffer_load_dwordx4 a[208:211], v49, s[12:15], 0 offen     // 00000000744C: E05C1000 8083D031
	v_mfma_i32_16x16x32_i8 v[200:203], a[84:85], v[148:149], v[200:203]// 000000007454: D3D700C8 0F232954
	v_mfma_i32_16x16x32_i8 v[200:203], a[86:87], v[150:151], v[200:203]// 00000000745C: D3D700C8 0F232D56
	v_mfma_i32_16x16x32_i8 v[200:203], a[88:89], v[152:153], v[200:203]// 000000007464: D3D700C8 0F233158
	v_mfma_i32_16x16x32_i8 v[200:203], a[90:91], v[154:155], v[200:203]// 00000000746C: D3D700C8 0F23355A
	buffer_load_dwordx4 a[212:215], v49, s[12:15], 0 offen offset:1024// 000000007474: E05C1400 8083D431
	v_mfma_i32_16x16x32_i8 v[200:203], a[92:93], v[156:157], v[200:203]// 00000000747C: D3D700C8 0F23395C
	v_mfma_i32_16x16x32_i8 v[200:203], a[94:95], v[158:159], v[200:203]// 000000007484: D3D700C8 0F233D5E
	v_mfma_i32_16x16x32_i8 v[204:207], a[80:81], v[176:177], v[204:207]// 00000000748C: D3D700CC 0F336150
	v_mfma_i32_16x16x32_i8 v[204:207], a[82:83], v[178:179], v[204:207]// 000000007494: D3D700CC 0F336552
	buffer_load_dwordx4 a[216:219], v49, s[12:15], 0 offen offset:2048// 00000000749C: E05C1800 8083D831
	v_mfma_i32_16x16x32_i8 v[204:207], a[84:85], v[180:181], v[204:207]// 0000000074A4: D3D700CC 0F336954
	v_mfma_i32_16x16x32_i8 v[204:207], a[86:87], v[182:183], v[204:207]// 0000000074AC: D3D700CC 0F336D56
	v_mfma_i32_16x16x32_i8 v[204:207], a[88:89], v[184:185], v[204:207]// 0000000074B4: D3D700CC 0F337158
	v_mfma_i32_16x16x32_i8 v[204:207], a[90:91], v[186:187], v[204:207]// 0000000074BC: D3D700CC 0F33755A
	buffer_load_dwordx4 a[220:223], v49, s[12:15], 0 offen offset:3072// 0000000074C4: E05C1C00 8083DC31
	v_mfma_i32_16x16x32_i8 v[204:207], a[92:93], v[188:189], v[204:207]// 0000000074CC: D3D700CC 0F33795C
	v_mfma_i32_16x16x32_i8 v[204:207], a[94:95], v[190:191], v[204:207]// 0000000074D4: D3D700CC 0F337D5E
	s_waitcnt vmcnt(24)                                        // 0000000074DC: BF8C4F78
	v_mfma_i32_16x16x32_i8 v[208:211], a[96:97], v[144:145], v[208:211]// 0000000074E0: D3D700D0 0F432160
	v_mfma_i32_16x16x32_i8 v[208:211], a[98:99], v[146:147], v[208:211]// 0000000074E8: D3D700D0 0F432562
	buffer_load_dwordx4 a[224:227], v50, s[12:15], 0 offen     // 0000000074F0: E05C1000 8083E032
	v_mfma_i32_16x16x32_i8 v[208:211], a[100:101], v[148:149], v[208:211]// 0000000074F8: D3D700D0 0F432964
	v_mfma_i32_16x16x32_i8 v[208:211], a[102:103], v[150:151], v[208:211]// 000000007500: D3D700D0 0F432D66
	buffer_load_dword v13, v5, s[16:19], 0 offen               // 000000007508: E0501000 80040D05
	v_mfma_i32_16x16x32_i8 v[208:211], a[104:105], v[152:153], v[208:211]// 000000007510: D3D700D0 0F433168
	v_mfma_i32_16x16x32_i8 v[208:211], a[106:107], v[154:155], v[208:211]// 000000007518: D3D700D0 0F43356A
	buffer_load_dwordx4 a[228:231], v50, s[12:15], 0 offen offset:1024// 000000007520: E05C1400 8083E432
	v_mfma_i32_16x16x32_i8 v[208:211], a[108:109], v[156:157], v[208:211]// 000000007528: D3D700D0 0F43396C
	v_mfma_i32_16x16x32_i8 v[208:211], a[110:111], v[158:159], v[208:211]// 000000007530: D3D700D0 0F433D6E
	v_mfma_i32_16x16x32_i8 v[212:215], a[96:97], v[176:177], v[212:215]// 000000007538: D3D700D4 0F536160
	v_mfma_i32_16x16x32_i8 v[212:215], a[98:99], v[178:179], v[212:215]// 000000007540: D3D700D4 0F536562
	buffer_load_dwordx4 a[232:235], v50, s[12:15], 0 offen offset:2048// 000000007548: E05C1800 8083E832
	v_mfma_i32_16x16x32_i8 v[212:215], a[100:101], v[180:181], v[212:215]// 000000007550: D3D700D4 0F536964
	s_add_u32 s60, 0x200, s80                                  // 000000007558: 803C50FF 00000200
	s_cmp_lt_u32 s60, s81                                      // 000000007560: BF0A513C
	v_mfma_i32_16x16x32_i8 v[212:215], a[102:103], v[182:183], v[212:215]// 000000007564: D3D700D4 0F536D66
	s_cselect_b32 s56, s56, 0                                  // 00000000756C: 85388038
	s_cselect_b32 s78, s78, 0                                  // 000000007570: 854E804E
	s_cselect_b32 s79, s79, 0                                  // 000000007574: 854F804F
	v_mfma_i32_16x16x32_i8 v[212:215], a[104:105], v[184:185], v[212:215]// 000000007578: D3D700D4 0F537168
	v_mfma_i32_16x16x32_i8 v[212:215], a[106:107], v[186:187], v[212:215]// 000000007580: D3D700D4 0F53756A
	buffer_load_dwordx4 a[236:239], v50, s[12:15], 0 offen offset:3072// 000000007588: E05C1C00 8083EC32
	v_mfma_i32_16x16x32_i8 v[212:215], a[108:109], v[188:189], v[212:215]// 000000007590: D3D700D4 0F53796C
	s_add_u32 s16, s79, s16                                    // 000000007598: 8010104F
	s_addc_u32 s17, 0, s17                                     // 00000000759C: 82111180
	v_mfma_i32_16x16x32_i8 v[212:215], a[110:111], v[190:191], v[212:215]// 0000000075A0: D3D700D4 0F537D6E
	v_mfma_i32_16x16x32_i8 v[216:219], a[112:113], v[144:145], v[216:219]// 0000000075A8: D3D700D8 0F632170
	v_mfma_i32_16x16x32_i8 v[216:219], a[114:115], v[146:147], v[216:219]// 0000000075B0: D3D700D8 0F632572
	buffer_load_dwordx4 a[240:243], v51, s[12:15], 0 offen     // 0000000075B8: E05C1000 8083F033
	v_mfma_i32_16x16x32_i8 v[216:219], a[116:117], v[148:149], v[216:219]// 0000000075C0: D3D700D8 0F632974
	v_mfma_i32_16x16x32_i8 v[216:219], a[118:119], v[150:151], v[216:219]// 0000000075C8: D3D700D8 0F632D76
	v_mfma_i32_16x16x32_i8 v[216:219], a[120:121], v[152:153], v[216:219]// 0000000075D0: D3D700D8 0F633178
	v_mfma_i32_16x16x32_i8 v[216:219], a[122:123], v[154:155], v[216:219]// 0000000075D8: D3D700D8 0F63357A
	buffer_load_dwordx4 a[244:247], v51, s[12:15], 0 offen offset:1024// 0000000075E0: E05C1400 8083F433
	v_mfma_i32_16x16x32_i8 v[216:219], a[124:125], v[156:157], v[216:219]// 0000000075E8: D3D700D8 0F63397C
	v_mfma_i32_16x16x32_i8 v[216:219], a[126:127], v[158:159], v[216:219]// 0000000075F0: D3D700D8 0F633D7E
	v_mfma_i32_16x16x32_i8 v[220:223], a[112:113], v[176:177], v[220:223]// 0000000075F8: D3D700DC 0F736170
	v_mfma_i32_16x16x32_i8 v[220:223], a[114:115], v[178:179], v[220:223]// 000000007600: D3D700DC 0F736572
	buffer_load_dwordx4 a[248:251], v51, s[12:15], 0 offen offset:2048// 000000007608: E05C1800 8083F833
	v_mfma_i32_16x16x32_i8 v[220:223], a[116:117], v[180:181], v[220:223]// 000000007610: D3D700DC 0F736974
	v_mfma_i32_16x16x32_i8 v[220:223], a[118:119], v[182:183], v[220:223]// 000000007618: D3D700DC 0F736D76
	v_mfma_i32_16x16x32_i8 v[220:223], a[120:121], v[184:185], v[220:223]// 000000007620: D3D700DC 0F737178
	v_mfma_i32_16x16x32_i8 v[220:223], a[122:123], v[186:187], v[220:223]// 000000007628: D3D700DC 0F73757A
	buffer_load_dwordx4 a[252:255], v51, s[12:15], 0 offen offset:3072// 000000007630: E05C1C00 8083FC33
	v_mfma_i32_16x16x32_i8 v[220:223], a[124:125], v[188:189], v[220:223]// 000000007638: D3D700DC 0F73797C
	s_add_u32 s12, s56, s12                                    // 000000007640: 800C0C38
	s_addc_u32 s13, 0, s13                                     // 000000007644: 820D0D80
	v_mfma_i32_16x16x32_i8 v[220:223], a[126:127], v[190:191], v[220:223]// 000000007648: D3D700DC 0F737D7E
	v_mov_b32_e32 v96, v24                                     // 000000007650: 7EC00318
	v_mov_b32_e32 v100, v20                                    // 000000007654: 7EC80314
	v_mov_b32_e32 v97, v24                                     // 000000007658: 7EC20318
	v_mov_b32_e32 v101, v20                                    // 00000000765C: 7ECA0314
	v_mov_b32_e32 v98, v25                                     // 000000007660: 7EC40319
	v_mov_b32_e32 v102, v21                                    // 000000007664: 7ECC0315
	v_mov_b32_e32 v99, v25                                     // 000000007668: 7EC60319
	v_mov_b32_e32 v103, v21                                    // 00000000766C: 7ECE0315
	v_cvt_f32_i32_e32 v192, v192                               // 000000007670: 7F800BC0
	v_cvt_f32_i32_e32 v193, v193                               // 000000007674: 7F820BC1
	v_cvt_f32_i32_e32 v194, v194                               // 000000007678: 7F840BC2
	v_cvt_f32_i32_e32 v195, v195                               // 00000000767C: 7F860BC3
	v_pk_mul_f32 v[192:193], v[96:97], v[192:193]              // 000000007680: D3B140C0 18038160
	v_pk_mul_f32 v[194:195], v[96:97], v[194:195]              // 000000007688: D3B140C2 18038560
	v_mul_f32_dpp v192, v12, v192 row_newbcast:0 row_mask:0xf bank_mask:0xf// 000000007690: 0B8180FA FF01500C
	v_mul_f32_dpp v193, v12, v193 row_newbcast:1 row_mask:0xf bank_mask:0xf// 000000007698: 0B8382FA FF01510C
	v_mul_f32_dpp v194, v12, v194 row_newbcast:2 row_mask:0xf bank_mask:0xf// 0000000076A0: 0B8584FA FF01520C
	v_mul_f32_dpp v195, v12, v195 row_newbcast:3 row_mask:0xf bank_mask:0xf// 0000000076A8: 0B8786FA FF01530C
	v_pk_mul_f32 v[192:193], v[100:101], v[192:193]            // 0000000076B0: D3B140C0 18038164
	v_pk_mul_f32 v[194:195], v[100:101], v[194:195]            // 0000000076B8: D3B140C2 18038564
	v_cvt_f32_i32_e32 v196, v196                               // 0000000076C0: 7F880BC4
	v_cvt_f32_i32_e32 v197, v197                               // 0000000076C4: 7F8A0BC5
	v_cvt_f32_i32_e32 v198, v198                               // 0000000076C8: 7F8C0BC6
	v_cvt_f32_i32_e32 v199, v199                               // 0000000076CC: 7F8E0BC7
	v_pk_mul_f32 v[196:197], v[98:99], v[196:197]              // 0000000076D0: D3B140C4 18038962
	v_pk_mul_f32 v[198:199], v[98:99], v[198:199]              // 0000000076D8: D3B140C6 18038D62
	v_mul_f32_dpp v196, v12, v196 row_newbcast:0 row_mask:0xf bank_mask:0xf// 0000000076E0: 0B8988FA FF01500C
	v_mul_f32_dpp v197, v12, v197 row_newbcast:1 row_mask:0xf bank_mask:0xf// 0000000076E8: 0B8B8AFA FF01510C
	v_mul_f32_dpp v198, v12, v198 row_newbcast:2 row_mask:0xf bank_mask:0xf// 0000000076F0: 0B8D8CFA FF01520C
	v_mul_f32_dpp v199, v12, v199 row_newbcast:3 row_mask:0xf bank_mask:0xf// 0000000076F8: 0B8F8EFA FF01530C
	v_pk_mul_f32 v[196:197], v[102:103], v[196:197]            // 000000007700: D3B140C4 18038966
	v_pk_mul_f32 v[198:199], v[102:103], v[198:199]            // 000000007708: D3B140C6 18038D66
	v_cvt_f32_i32_e32 v200, v200                               // 000000007710: 7F900BC8
	v_cvt_f32_i32_e32 v201, v201                               // 000000007714: 7F920BC9
	v_cvt_f32_i32_e32 v202, v202                               // 000000007718: 7F940BCA
	v_cvt_f32_i32_e32 v203, v203                               // 00000000771C: 7F960BCB
	v_pk_mul_f32 v[200:201], v[96:97], v[200:201]              // 000000007720: D3B140C8 18039160
	v_pk_mul_f32 v[202:203], v[96:97], v[202:203]              // 000000007728: D3B140CA 18039560
	v_mul_f32_dpp v200, v12, v200 row_newbcast:4 row_mask:0xf bank_mask:0xf// 000000007730: 0B9190FA FF01540C
	v_mul_f32_dpp v201, v12, v201 row_newbcast:5 row_mask:0xf bank_mask:0xf// 000000007738: 0B9392FA FF01550C
	v_mul_f32_dpp v202, v12, v202 row_newbcast:6 row_mask:0xf bank_mask:0xf// 000000007740: 0B9594FA FF01560C
	v_mul_f32_dpp v203, v12, v203 row_newbcast:7 row_mask:0xf bank_mask:0xf// 000000007748: 0B9796FA FF01570C
	v_pk_mul_f32 v[200:201], v[100:101], v[200:201]            // 000000007750: D3B140C8 18039164
	v_pk_mul_f32 v[202:203], v[100:101], v[202:203]            // 000000007758: D3B140CA 18039564
	v_cvt_f32_i32_e32 v204, v204                               // 000000007760: 7F980BCC
	v_cvt_f32_i32_e32 v205, v205                               // 000000007764: 7F9A0BCD
	v_cvt_f32_i32_e32 v206, v206                               // 000000007768: 7F9C0BCE
	v_cvt_f32_i32_e32 v207, v207                               // 00000000776C: 7F9E0BCF
	v_pk_mul_f32 v[204:205], v[98:99], v[204:205]              // 000000007770: D3B140CC 18039962
	v_pk_mul_f32 v[206:207], v[98:99], v[206:207]              // 000000007778: D3B140CE 18039D62
	v_mul_f32_dpp v204, v12, v204 row_newbcast:4 row_mask:0xf bank_mask:0xf// 000000007780: 0B9998FA FF01540C
	v_mul_f32_dpp v205, v12, v205 row_newbcast:5 row_mask:0xf bank_mask:0xf// 000000007788: 0B9B9AFA FF01550C
	v_mul_f32_dpp v206, v12, v206 row_newbcast:6 row_mask:0xf bank_mask:0xf// 000000007790: 0B9D9CFA FF01560C
	v_mul_f32_dpp v207, v12, v207 row_newbcast:7 row_mask:0xf bank_mask:0xf// 000000007798: 0B9F9EFA FF01570C
	v_pk_mul_f32 v[204:205], v[102:103], v[204:205]            // 0000000077A0: D3B140CC 18039966
	v_pk_mul_f32 v[206:207], v[102:103], v[206:207]            // 0000000077A8: D3B140CE 18039D66
	v_cvt_f32_i32_e32 v208, v208                               // 0000000077B0: 7FA00BD0
	v_cvt_f32_i32_e32 v209, v209                               // 0000000077B4: 7FA20BD1
	v_cvt_f32_i32_e32 v210, v210                               // 0000000077B8: 7FA40BD2
	v_cvt_f32_i32_e32 v211, v211                               // 0000000077BC: 7FA60BD3
	v_pk_mul_f32 v[208:209], v[96:97], v[208:209]              // 0000000077C0: D3B140D0 1803A160
	v_pk_mul_f32 v[210:211], v[96:97], v[210:211]              // 0000000077C8: D3B140D2 1803A560
	v_mul_f32_dpp v208, v12, v208 row_newbcast:8 row_mask:0xf bank_mask:0xf// 0000000077D0: 0BA1A0FA FF01580C
	v_mul_f32_dpp v209, v12, v209 row_newbcast:9 row_mask:0xf bank_mask:0xf// 0000000077D8: 0BA3A2FA FF01590C
	v_mul_f32_dpp v210, v12, v210 row_newbcast:10 row_mask:0xf bank_mask:0xf// 0000000077E0: 0BA5A4FA FF015A0C
	v_mul_f32_dpp v211, v12, v211 row_newbcast:11 row_mask:0xf bank_mask:0xf// 0000000077E8: 0BA7A6FA FF015B0C
	v_pk_mul_f32 v[208:209], v[100:101], v[208:209]            // 0000000077F0: D3B140D0 1803A164
	v_pk_mul_f32 v[210:211], v[100:101], v[210:211]            // 0000000077F8: D3B140D2 1803A564
	v_cvt_f32_i32_e32 v212, v212                               // 000000007800: 7FA80BD4
	v_cvt_f32_i32_e32 v213, v213                               // 000000007804: 7FAA0BD5
	v_cvt_f32_i32_e32 v214, v214                               // 000000007808: 7FAC0BD6
	v_cvt_f32_i32_e32 v215, v215                               // 00000000780C: 7FAE0BD7
	v_pk_mul_f32 v[212:213], v[98:99], v[212:213]              // 000000007810: D3B140D4 1803A962
	v_pk_mul_f32 v[214:215], v[98:99], v[214:215]              // 000000007818: D3B140D6 1803AD62
	v_mul_f32_dpp v212, v12, v212 row_newbcast:8 row_mask:0xf bank_mask:0xf// 000000007820: 0BA9A8FA FF01580C
	v_mul_f32_dpp v213, v12, v213 row_newbcast:9 row_mask:0xf bank_mask:0xf// 000000007828: 0BABAAFA FF01590C
	v_mul_f32_dpp v214, v12, v214 row_newbcast:10 row_mask:0xf bank_mask:0xf// 000000007830: 0BADACFA FF015A0C
	v_mul_f32_dpp v215, v12, v215 row_newbcast:11 row_mask:0xf bank_mask:0xf// 000000007838: 0BAFAEFA FF015B0C
	v_pk_mul_f32 v[212:213], v[102:103], v[212:213]            // 000000007840: D3B140D4 1803A966
	v_pk_mul_f32 v[214:215], v[102:103], v[214:215]            // 000000007848: D3B140D6 1803AD66
	v_cvt_f32_i32_e32 v216, v216                               // 000000007850: 7FB00BD8
	v_cvt_f32_i32_e32 v217, v217                               // 000000007854: 7FB20BD9
	v_cvt_f32_i32_e32 v218, v218                               // 000000007858: 7FB40BDA
	v_cvt_f32_i32_e32 v219, v219                               // 00000000785C: 7FB60BDB
	v_pk_mul_f32 v[216:217], v[96:97], v[216:217]              // 000000007860: D3B140D8 1803B160
	v_pk_mul_f32 v[218:219], v[96:97], v[218:219]              // 000000007868: D3B140DA 1803B560
	v_mul_f32_dpp v216, v12, v216 row_newbcast:12 row_mask:0xf bank_mask:0xf// 000000007870: 0BB1B0FA FF015C0C
	v_mul_f32_dpp v217, v12, v217 row_newbcast:13 row_mask:0xf bank_mask:0xf// 000000007878: 0BB3B2FA FF015D0C
	v_mul_f32_dpp v218, v12, v218 row_newbcast:14 row_mask:0xf bank_mask:0xf// 000000007880: 0BB5B4FA FF015E0C
	v_mul_f32_dpp v219, v12, v219 row_newbcast:15 row_mask:0xf bank_mask:0xf// 000000007888: 0BB7B6FA FF015F0C
	v_pk_mul_f32 v[216:217], v[100:101], v[216:217]            // 000000007890: D3B140D8 1803B164
	v_pk_mul_f32 v[218:219], v[100:101], v[218:219]            // 000000007898: D3B140DA 1803B564
	v_cvt_f32_i32_e32 v220, v220                               // 0000000078A0: 7FB80BDC
	v_cvt_f32_i32_e32 v221, v221                               // 0000000078A4: 7FBA0BDD
	v_cvt_f32_i32_e32 v222, v222                               // 0000000078A8: 7FBC0BDE
	v_cvt_f32_i32_e32 v223, v223                               // 0000000078AC: 7FBE0BDF
	v_pk_mul_f32 v[220:221], v[98:99], v[220:221]              // 0000000078B0: D3B140DC 1803B962
	v_pk_mul_f32 v[222:223], v[98:99], v[222:223]              // 0000000078B8: D3B140DE 1803BD62
	v_mul_f32_dpp v220, v12, v220 row_newbcast:12 row_mask:0xf bank_mask:0xf// 0000000078C0: 0BB9B8FA FF015C0C
	v_mul_f32_dpp v221, v12, v221 row_newbcast:13 row_mask:0xf bank_mask:0xf// 0000000078C8: 0BBBBAFA FF015D0C
	v_mul_f32_dpp v222, v12, v222 row_newbcast:14 row_mask:0xf bank_mask:0xf// 0000000078D0: 0BBDBCFA FF015E0C
	v_mul_f32_dpp v223, v12, v223 row_newbcast:15 row_mask:0xf bank_mask:0xf// 0000000078D8: 0BBFBEFA FF015F0C
	v_pk_mul_f32 v[220:221], v[102:103], v[220:221]            // 0000000078E0: D3B140DC 1803B966
	v_pk_mul_f32 v[222:223], v[102:103], v[222:223]            // 0000000078E8: D3B140DE 1803BD66
	v_cmp_u_f32_e64 s[48:49], v192, v192                       // 0000000078F0: D0480030 000381C0
	v_add3_u32 v56, v192, v59, 1                               // 0000000078F8: D1FF0038 020677C0
	v_cndmask_b32_e64 v44, v56, v58, s[48:49]                  // 000000007900: D100002C 00C27538
	v_cmp_u_f32_e64 s[48:49], v193, v193                       // 000000007908: D0480030 000383C1
	v_add3_u32 v56, v193, v59, 1                               // 000000007910: D1FF0038 020677C1
	v_cndmask_b32_e64 v45, v56, v58, s[48:49]                  // 000000007918: D100002D 00C27538
	v_perm_b32 v192, v45, v44, s52                             // 000000007920: D1ED00C0 00D2592D
	v_cmp_u_f32_e64 s[48:49], v194, v194                       // 000000007928: D0480030 000385C2
	v_add3_u32 v56, v194, v59, 1                               // 000000007930: D1FF0038 020677C2
	v_cndmask_b32_e64 v44, v56, v58, s[48:49]                  // 000000007938: D100002C 00C27538
	v_cmp_u_f32_e64 s[48:49], v195, v195                       // 000000007940: D0480030 000387C3
	v_add3_u32 v56, v195, v59, 1                               // 000000007948: D1FF0038 020677C3
	v_cndmask_b32_e64 v45, v56, v58, s[48:49]                  // 000000007950: D100002D 00C27538
	v_perm_b32 v193, v45, v44, s52                             // 000000007958: D1ED00C1 00D2592D
	v_cmp_u_f32_e64 s[48:49], v196, v196                       // 000000007960: D0480030 000389C4
	v_add3_u32 v56, v196, v59, 1                               // 000000007968: D1FF0038 020677C4
	v_cndmask_b32_e64 v44, v56, v58, s[48:49]                  // 000000007970: D100002C 00C27538
	v_cmp_u_f32_e64 s[48:49], v197, v197                       // 000000007978: D0480030 00038BC5
	v_add3_u32 v56, v197, v59, 1                               // 000000007980: D1FF0038 020677C5
	v_cndmask_b32_e64 v45, v56, v58, s[48:49]                  // 000000007988: D100002D 00C27538
	v_perm_b32 v194, v45, v44, s52                             // 000000007990: D1ED00C2 00D2592D
	v_cmp_u_f32_e64 s[48:49], v198, v198                       // 000000007998: D0480030 00038DC6
	v_add3_u32 v56, v198, v59, 1                               // 0000000079A0: D1FF0038 020677C6
	v_cndmask_b32_e64 v44, v56, v58, s[48:49]                  // 0000000079A8: D100002C 00C27538
	v_cmp_u_f32_e64 s[48:49], v199, v199                       // 0000000079B0: D0480030 00038FC7
	v_add3_u32 v56, v199, v59, 1                               // 0000000079B8: D1FF0038 020677C7
	v_cndmask_b32_e64 v45, v56, v58, s[48:49]                  // 0000000079C0: D100002D 00C27538
	v_perm_b32 v195, v45, v44, s52                             // 0000000079C8: D1ED00C3 00D2592D
	v_cmp_u_f32_e64 s[48:49], v200, v200                       // 0000000079D0: D0480030 000391C8
	v_add3_u32 v56, v200, v59, 1                               // 0000000079D8: D1FF0038 020677C8
	v_cndmask_b32_e64 v44, v56, v58, s[48:49]                  // 0000000079E0: D100002C 00C27538
	v_cmp_u_f32_e64 s[48:49], v201, v201                       // 0000000079E8: D0480030 000393C9
	v_add3_u32 v56, v201, v59, 1                               // 0000000079F0: D1FF0038 020677C9
	v_cndmask_b32_e64 v45, v56, v58, s[48:49]                  // 0000000079F8: D100002D 00C27538
	v_perm_b32 v196, v45, v44, s52                             // 000000007A00: D1ED00C4 00D2592D
	v_cmp_u_f32_e64 s[48:49], v202, v202                       // 000000007A08: D0480030 000395CA
	v_add3_u32 v56, v202, v59, 1                               // 000000007A10: D1FF0038 020677CA
	v_cndmask_b32_e64 v44, v56, v58, s[48:49]                  // 000000007A18: D100002C 00C27538
	v_cmp_u_f32_e64 s[48:49], v203, v203                       // 000000007A20: D0480030 000397CB
	v_add3_u32 v56, v203, v59, 1                               // 000000007A28: D1FF0038 020677CB
	v_cndmask_b32_e64 v45, v56, v58, s[48:49]                  // 000000007A30: D100002D 00C27538
	v_perm_b32 v197, v45, v44, s52                             // 000000007A38: D1ED00C5 00D2592D
	v_cmp_u_f32_e64 s[48:49], v204, v204                       // 000000007A40: D0480030 000399CC
	v_add3_u32 v56, v204, v59, 1                               // 000000007A48: D1FF0038 020677CC
	v_cndmask_b32_e64 v44, v56, v58, s[48:49]                  // 000000007A50: D100002C 00C27538
	v_cmp_u_f32_e64 s[48:49], v205, v205                       // 000000007A58: D0480030 00039BCD
	v_add3_u32 v56, v205, v59, 1                               // 000000007A60: D1FF0038 020677CD
	v_cndmask_b32_e64 v45, v56, v58, s[48:49]                  // 000000007A68: D100002D 00C27538
	v_perm_b32 v198, v45, v44, s52                             // 000000007A70: D1ED00C6 00D2592D
	v_cmp_u_f32_e64 s[48:49], v206, v206                       // 000000007A78: D0480030 00039DCE
	v_add3_u32 v56, v206, v59, 1                               // 000000007A80: D1FF0038 020677CE
	v_cndmask_b32_e64 v44, v56, v58, s[48:49]                  // 000000007A88: D100002C 00C27538
	v_cmp_u_f32_e64 s[48:49], v207, v207                       // 000000007A90: D0480030 00039FCF
	v_add3_u32 v56, v207, v59, 1                               // 000000007A98: D1FF0038 020677CF
	v_cndmask_b32_e64 v45, v56, v58, s[48:49]                  // 000000007AA0: D100002D 00C27538
	v_perm_b32 v199, v45, v44, s52                             // 000000007AA8: D1ED00C7 00D2592D
	v_cmp_u_f32_e64 s[48:49], v208, v208                       // 000000007AB0: D0480030 0003A1D0
	v_add3_u32 v56, v208, v59, 1                               // 000000007AB8: D1FF0038 020677D0
	v_cndmask_b32_e64 v44, v56, v58, s[48:49]                  // 000000007AC0: D100002C 00C27538
	v_cmp_u_f32_e64 s[48:49], v209, v209                       // 000000007AC8: D0480030 0003A3D1
	v_add3_u32 v56, v209, v59, 1                               // 000000007AD0: D1FF0038 020677D1
	v_cndmask_b32_e64 v45, v56, v58, s[48:49]                  // 000000007AD8: D100002D 00C27538
	v_perm_b32 v200, v45, v44, s52                             // 000000007AE0: D1ED00C8 00D2592D
	v_cmp_u_f32_e64 s[48:49], v210, v210                       // 000000007AE8: D0480030 0003A5D2
	v_add3_u32 v56, v210, v59, 1                               // 000000007AF0: D1FF0038 020677D2
	v_cndmask_b32_e64 v44, v56, v58, s[48:49]                  // 000000007AF8: D100002C 00C27538
	v_cmp_u_f32_e64 s[48:49], v211, v211                       // 000000007B00: D0480030 0003A7D3
	v_add3_u32 v56, v211, v59, 1                               // 000000007B08: D1FF0038 020677D3
	v_cndmask_b32_e64 v45, v56, v58, s[48:49]                  // 000000007B10: D100002D 00C27538
	v_perm_b32 v201, v45, v44, s52                             // 000000007B18: D1ED00C9 00D2592D
	v_cmp_u_f32_e64 s[48:49], v212, v212                       // 000000007B20: D0480030 0003A9D4
	v_add3_u32 v56, v212, v59, 1                               // 000000007B28: D1FF0038 020677D4
	v_cndmask_b32_e64 v44, v56, v58, s[48:49]                  // 000000007B30: D100002C 00C27538
	v_cmp_u_f32_e64 s[48:49], v213, v213                       // 000000007B38: D0480030 0003ABD5
	v_add3_u32 v56, v213, v59, 1                               // 000000007B40: D1FF0038 020677D5
	v_cndmask_b32_e64 v45, v56, v58, s[48:49]                  // 000000007B48: D100002D 00C27538
	v_perm_b32 v202, v45, v44, s52                             // 000000007B50: D1ED00CA 00D2592D
	v_cmp_u_f32_e64 s[48:49], v214, v214                       // 000000007B58: D0480030 0003ADD6
	v_add3_u32 v56, v214, v59, 1                               // 000000007B60: D1FF0038 020677D6
	v_cndmask_b32_e64 v44, v56, v58, s[48:49]                  // 000000007B68: D100002C 00C27538
	v_cmp_u_f32_e64 s[48:49], v215, v215                       // 000000007B70: D0480030 0003AFD7
	v_add3_u32 v56, v215, v59, 1                               // 000000007B78: D1FF0038 020677D7
	v_cndmask_b32_e64 v45, v56, v58, s[48:49]                  // 000000007B80: D100002D 00C27538
	v_perm_b32 v203, v45, v44, s52                             // 000000007B88: D1ED00CB 00D2592D
	v_cmp_u_f32_e64 s[48:49], v216, v216                       // 000000007B90: D0480030 0003B1D8
	v_add3_u32 v56, v216, v59, 1                               // 000000007B98: D1FF0038 020677D8
	v_cndmask_b32_e64 v44, v56, v58, s[48:49]                  // 000000007BA0: D100002C 00C27538
	v_cmp_u_f32_e64 s[48:49], v217, v217                       // 000000007BA8: D0480030 0003B3D9
	v_add3_u32 v56, v217, v59, 1                               // 000000007BB0: D1FF0038 020677D9
	v_cndmask_b32_e64 v45, v56, v58, s[48:49]                  // 000000007BB8: D100002D 00C27538
	v_perm_b32 v204, v45, v44, s52                             // 000000007BC0: D1ED00CC 00D2592D
	v_cmp_u_f32_e64 s[48:49], v218, v218                       // 000000007BC8: D0480030 0003B5DA
	v_add3_u32 v56, v218, v59, 1                               // 000000007BD0: D1FF0038 020677DA
	v_cndmask_b32_e64 v44, v56, v58, s[48:49]                  // 000000007BD8: D100002C 00C27538
	v_cmp_u_f32_e64 s[48:49], v219, v219                       // 000000007BE0: D0480030 0003B7DB
	v_add3_u32 v56, v219, v59, 1                               // 000000007BE8: D1FF0038 020677DB
	v_cndmask_b32_e64 v45, v56, v58, s[48:49]                  // 000000007BF0: D100002D 00C27538
	v_perm_b32 v205, v45, v44, s52                             // 000000007BF8: D1ED00CD 00D2592D
	v_cmp_u_f32_e64 s[48:49], v220, v220                       // 000000007C00: D0480030 0003B9DC
	v_add3_u32 v56, v220, v59, 1                               // 000000007C08: D1FF0038 020677DC
	v_cndmask_b32_e64 v44, v56, v58, s[48:49]                  // 000000007C10: D100002C 00C27538
	v_cmp_u_f32_e64 s[48:49], v221, v221                       // 000000007C18: D0480030 0003BBDD
	v_add3_u32 v56, v221, v59, 1                               // 000000007C20: D1FF0038 020677DD
	v_cndmask_b32_e64 v45, v56, v58, s[48:49]                  // 000000007C28: D100002D 00C27538
	v_perm_b32 v206, v45, v44, s52                             // 000000007C30: D1ED00CE 00D2592D
	v_cmp_u_f32_e64 s[48:49], v222, v222                       // 000000007C38: D0480030 0003BDDE
	v_add3_u32 v56, v222, v59, 1                               // 000000007C40: D1FF0038 020677DE
	v_cndmask_b32_e64 v44, v56, v58, s[48:49]                  // 000000007C48: D100002C 00C27538
	v_cmp_u_f32_e64 s[48:49], v223, v223                       // 000000007C50: D0480030 0003BFDF
	v_add3_u32 v56, v223, v59, 1                               // 000000007C58: D1FF0038 020677DF
	v_cndmask_b32_e64 v45, v56, v58, s[48:49]                  // 000000007C60: D100002D 00C27538
	v_perm_b32 v207, v45, v44, s52                             // 000000007C68: D1ED00CF 00D2592D
	s_setvskip s20, 0                                          // 000000007C70: BF108014
	global_atomic_pk_add_bf16 v80, v64, s[8:9]                 // 000000007C74: DD488000 00084050
	s_setvskip 0, 0                                            // 000000007C7C: BF108080
	s_setvskip s20, 0                                          // 000000007C80: BF108014
	global_atomic_pk_add_bf16 v80, v65, s[8:9] offset:256      // 000000007C84: DD488100 00084150
	s_setvskip 0, 0                                            // 000000007C8C: BF108080
	s_setvskip s20, 1                                          // 000000007C90: BF108114
	global_atomic_pk_add_bf16 v82, v66, s[8:9]                 // 000000007C94: DD488000 00084252
	s_setvskip 0, 0                                            // 000000007C9C: BF108080
	s_setvskip s20, 1                                          // 000000007CA0: BF108114
	global_atomic_pk_add_bf16 v82, v67, s[8:9] offset:256      // 000000007CA4: DD488100 00084352
	s_setvskip 0, 0                                            // 000000007CAC: BF108080
	s_setvskip s20, 2                                          // 000000007CB0: BF108214
	global_atomic_pk_add_bf16 v84, v68, s[8:9]                 // 000000007CB4: DD488000 00084454
	s_setvskip 0, 0                                            // 000000007CBC: BF108080
	s_setvskip s20, 2                                          // 000000007CC0: BF108214
	global_atomic_pk_add_bf16 v84, v69, s[8:9] offset:256      // 000000007CC4: DD488100 00084554
	s_setvskip 0, 0                                            // 000000007CCC: BF108080
	s_setvskip s20, 3                                          // 000000007CD0: BF108314
	global_atomic_pk_add_bf16 v86, v70, s[8:9]                 // 000000007CD4: DD488000 00084656
	s_setvskip 0, 0                                            // 000000007CDC: BF108080
	s_setvskip s20, 3                                          // 000000007CE0: BF108314
	global_atomic_pk_add_bf16 v86, v71, s[8:9] offset:256      // 000000007CE4: DD488100 00084756
	s_setvskip 0, 0                                            // 000000007CEC: BF108080
	s_setvskip s20, 4                                          // 000000007CF0: BF108414
	global_atomic_pk_add_bf16 v88, v72, s[8:9]                 // 000000007CF4: DD488000 00084858
	s_setvskip 0, 0                                            // 000000007CFC: BF108080
	s_setvskip s20, 4                                          // 000000007D00: BF108414
	global_atomic_pk_add_bf16 v88, v73, s[8:9] offset:256      // 000000007D04: DD488100 00084958
	s_setvskip 0, 0                                            // 000000007D0C: BF108080
	s_setvskip s20, 5                                          // 000000007D10: BF108514
	global_atomic_pk_add_bf16 v90, v74, s[8:9]                 // 000000007D14: DD488000 00084A5A
	s_setvskip 0, 0                                            // 000000007D1C: BF108080
	s_setvskip s20, 5                                          // 000000007D20: BF108514
	global_atomic_pk_add_bf16 v90, v75, s[8:9] offset:256      // 000000007D24: DD488100 00084B5A
	s_setvskip 0, 0                                            // 000000007D2C: BF108080
	s_setvskip s20, 6                                          // 000000007D30: BF108614
	global_atomic_pk_add_bf16 v92, v76, s[8:9]                 // 000000007D34: DD488000 00084C5C
	s_setvskip 0, 0                                            // 000000007D3C: BF108080
	s_setvskip s20, 6                                          // 000000007D40: BF108614
	global_atomic_pk_add_bf16 v92, v77, s[8:9] offset:256      // 000000007D44: DD488100 00084D5C
	s_setvskip 0, 0                                            // 000000007D4C: BF108080
	s_setvskip s20, 7                                          // 000000007D50: BF108714
	global_atomic_pk_add_bf16 v94, v78, s[8:9]                 // 000000007D54: DD488000 00084E5E
	s_setvskip 0, 0                                            // 000000007D5C: BF108080
	s_setvskip s20, 7                                          // 000000007D60: BF108714
	global_atomic_pk_add_bf16 v94, v79, s[8:9] offset:256      // 000000007D64: DD488100 00084F5E
	s_setvskip 0, 0                                            // 000000007D6C: BF108080
	s_cmp_ge_u32 s80, 0x200                                    // 000000007D70: BF09FF50 00000200
	s_cselect_b32 s59, 0x200, s59                              // 000000007D78: 853B3BFF 00000200
	s_add_u32 s8, s59, s8                                      // 000000007D80: 8008083B
	s_addc_u32 s9, 0, s9                                       // 000000007D84: 82090980
	s_addk_i32 s80, 0x100                                      // 000000007D88: B7500100
	s_cmp_lt_i32 s80, s81                                      // 000000007D8C: BF045150
	s_cbranch_scc0 label_17FA                                  // 000000007D90: BF840355
	s_waitcnt vmcnt(25) lgkmcnt(0)                             // 000000007D94: BF8C4079
	s_barrier                                                  // 000000007D98: BF8A0000
	v_mfma_i32_16x16x32_i8 v[224:227], a[128:129], v[128:129], 0// 000000007D9C: D3D700E0 0A030180
	ds_read_b32 v64, v4 offset:35840                           // 000000007DA4: D86C8C00 40000004
	ds_read_b32 v65, v4 offset:40192                           // 000000007DAC: D86C9D00 41000004
	v_mfma_i32_16x16x32_i8 v[224:227], a[130:131], v[130:131], v[224:227]// 000000007DB4: D3D700E0 0F830582
	buffer_load_dwordx4 a[0:3], v48, s[12:15], 0 offen         // 000000007DBC: E05C1000 80830030
	v_mfma_i32_16x16x32_i8 v[224:227], a[132:133], v[132:133], v[224:227]// 000000007DC4: D3D700E0 0F830984
	ds_read_b32 v66, v4 offset:35872                           // 000000007DCC: D86C8C20 42000004
	ds_read_b32 v67, v4 offset:40224                           // 000000007DD4: D86C9D20 43000004
	v_mfma_i32_16x16x32_i8 v[224:227], a[134:135], v[134:135], v[224:227]// 000000007DDC: D3D700E0 0F830D86
	v_mfma_i32_16x16x32_i8 v[224:227], a[136:137], v[136:137], v[224:227]// 000000007DE4: D3D700E0 0F831188
	ds_read_b32 v68, v4 offset:35904                           // 000000007DEC: D86C8C40 44000004
	ds_read_b32 v69, v4 offset:40256                           // 000000007DF4: D86C9D40 45000004
	v_mfma_i32_16x16x32_i8 v[224:227], a[138:139], v[138:139], v[224:227]// 000000007DFC: D3D700E0 0F83158A
	buffer_load_dwordx4 a[4:7], v48, s[12:15], 0 offen offset:1024// 000000007E04: E05C1400 80830430
	v_mfma_i32_16x16x32_i8 v[224:227], a[140:141], v[140:141], v[224:227]// 000000007E0C: D3D700E0 0F83198C
	ds_read_b32 v70, v4 offset:35936                           // 000000007E14: D86C8C60 46000004
	ds_read_b32 v71, v4 offset:40288                           // 000000007E1C: D86C9D60 47000004
	v_mfma_i32_16x16x32_i8 v[224:227], a[142:143], v[142:143], v[224:227]// 000000007E24: D3D700E0 0F831D8E
	v_mfma_i32_16x16x32_i8 v[228:231], a[128:129], v[160:161], 0// 000000007E2C: D3D700E4 0A034180
	ds_read_b32 v72, v4 offset:44544                           // 000000007E34: D86CAE00 48000004
	ds_read_b32 v73, v4 offset:48896                           // 000000007E3C: D86CBF00 49000004
	v_mfma_i32_16x16x32_i8 v[228:231], a[130:131], v[162:163], v[228:231]// 000000007E44: D3D700E4 0F934582
	buffer_load_dwordx4 a[8:11], v48, s[12:15], 0 offen offset:2048// 000000007E4C: E05C1800 80830830
	v_mfma_i32_16x16x32_i8 v[228:231], a[132:133], v[164:165], v[228:231]// 000000007E54: D3D700E4 0F934984
	ds_read_b32 v74, v4 offset:44576                           // 000000007E5C: D86CAE20 4A000004
	ds_read_b32 v75, v4 offset:48928                           // 000000007E64: D86CBF20 4B000004
	v_mfma_i32_16x16x32_i8 v[228:231], a[134:135], v[166:167], v[228:231]// 000000007E6C: D3D700E4 0F934D86
	v_mfma_i32_16x16x32_i8 v[228:231], a[136:137], v[168:169], v[228:231]// 000000007E74: D3D700E4 0F935188
	ds_read_b32 v76, v4 offset:44608                           // 000000007E7C: D86CAE40 4C000004
	ds_read_b32 v77, v4 offset:48960                           // 000000007E84: D86CBF40 4D000004
	v_mfma_i32_16x16x32_i8 v[228:231], a[138:139], v[170:171], v[228:231]// 000000007E8C: D3D700E4 0F93558A
	buffer_load_dwordx4 a[12:15], v48, s[12:15], 0 offen offset:3072// 000000007E94: E05C1C00 80830C30
	v_mfma_i32_16x16x32_i8 v[228:231], a[140:141], v[172:173], v[228:231]// 000000007E9C: D3D700E4 0F93598C
	ds_read_b32 v78, v4 offset:44640                           // 000000007EA4: D86CAE60 4E000004
	ds_read_b32 v79, v4 offset:48992                           // 000000007EAC: D86CBF60 4F000004
	v_mfma_i32_16x16x32_i8 v[228:231], a[142:143], v[174:175], v[228:231]// 000000007EB4: D3D700E4 0F935D8E
	v_mfma_i32_16x16x32_i8 v[232:235], a[144:145], v[128:129], 0// 000000007EBC: D3D700E8 0A030190
	v_mfma_i32_16x16x32_i8 v[232:235], a[146:147], v[130:131], v[232:235]// 000000007EC4: D3D700E8 0FA30592
	buffer_load_dwordx4 a[16:19], v49, s[12:15], 0 offen       // 000000007ECC: E05C1000 80831031
	v_mfma_i32_16x16x32_i8 v[232:235], a[148:149], v[132:133], v[232:235]// 000000007ED4: D3D700E8 0FA30994
	v_mfma_i32_16x16x32_i8 v[232:235], a[150:151], v[134:135], v[232:235]// 000000007EDC: D3D700E8 0FA30D96
	v_mfma_i32_16x16x32_i8 v[232:235], a[152:153], v[136:137], v[232:235]// 000000007EE4: D3D700E8 0FA31198
	v_mfma_i32_16x16x32_i8 v[232:235], a[154:155], v[138:139], v[232:235]// 000000007EEC: D3D700E8 0FA3159A
	buffer_load_dwordx4 a[20:23], v49, s[12:15], 0 offen offset:1024// 000000007EF4: E05C1400 80831431
	v_mfma_i32_16x16x32_i8 v[232:235], a[156:157], v[140:141], v[232:235]// 000000007EFC: D3D700E8 0FA3199C
	v_mfma_i32_16x16x32_i8 v[232:235], a[158:159], v[142:143], v[232:235]// 000000007F04: D3D700E8 0FA31D9E
	v_mfma_i32_16x16x32_i8 v[236:239], a[144:145], v[160:161], 0// 000000007F0C: D3D700EC 0A034190
	v_mfma_i32_16x16x32_i8 v[236:239], a[146:147], v[162:163], v[236:239]// 000000007F14: D3D700EC 0FB34592
	buffer_load_dwordx4 a[24:27], v49, s[12:15], 0 offen offset:2048// 000000007F1C: E05C1800 80831831
	v_mfma_i32_16x16x32_i8 v[236:239], a[148:149], v[164:165], v[236:239]// 000000007F24: D3D700EC 0FB34994
	v_mfma_i32_16x16x32_i8 v[236:239], a[150:151], v[166:167], v[236:239]// 000000007F2C: D3D700EC 0FB34D96
	v_mfma_i32_16x16x32_i8 v[236:239], a[152:153], v[168:169], v[236:239]// 000000007F34: D3D700EC 0FB35198
	v_mfma_i32_16x16x32_i8 v[236:239], a[154:155], v[170:171], v[236:239]// 000000007F3C: D3D700EC 0FB3559A
	buffer_load_dwordx4 a[28:31], v49, s[12:15], 0 offen offset:3072// 000000007F44: E05C1C00 80831C31
	v_mfma_i32_16x16x32_i8 v[236:239], a[156:157], v[172:173], v[236:239]// 000000007F4C: D3D700EC 0FB3599C
	v_mfma_i32_16x16x32_i8 v[236:239], a[158:159], v[174:175], v[236:239]// 000000007F54: D3D700EC 0FB35D9E
	s_waitcnt vmcnt(25)                                        // 000000007F5C: BF8C4F79
	v_mfma_i32_16x16x32_i8 v[240:243], a[160:161], v[128:129], 0// 000000007F60: D3D700F0 0A0301A0
	v_mfma_i32_16x16x32_i8 v[240:243], a[162:163], v[130:131], v[240:243]// 000000007F68: D3D700F0 0FC305A2
	buffer_load_dwordx4 a[32:35], v50, s[12:15], 0 offen       // 000000007F70: E05C1000 80832032
	v_mfma_i32_16x16x32_i8 v[240:243], a[164:165], v[132:133], v[240:243]// 000000007F78: D3D700F0 0FC309A4
	v_mfma_i32_16x16x32_i8 v[240:243], a[166:167], v[134:135], v[240:243]// 000000007F80: D3D700F0 0FC30DA6
	v_mfma_i32_16x16x32_i8 v[240:243], a[168:169], v[136:137], v[240:243]// 000000007F88: D3D700F0 0FC311A8
	v_mfma_i32_16x16x32_i8 v[240:243], a[170:171], v[138:139], v[240:243]// 000000007F90: D3D700F0 0FC315AA
	buffer_load_dwordx4 a[36:39], v50, s[12:15], 0 offen offset:1024// 000000007F98: E05C1400 80832432
	v_mfma_i32_16x16x32_i8 v[240:243], a[172:173], v[140:141], v[240:243]// 000000007FA0: D3D700F0 0FC319AC
	v_mfma_i32_16x16x32_i8 v[240:243], a[174:175], v[142:143], v[240:243]// 000000007FA8: D3D700F0 0FC31DAE
	v_mfma_i32_16x16x32_i8 v[244:247], a[160:161], v[160:161], 0// 000000007FB0: D3D700F4 0A0341A0
	v_mfma_i32_16x16x32_i8 v[244:247], a[162:163], v[162:163], v[244:247]// 000000007FB8: D3D700F4 0FD345A2
	buffer_load_dwordx4 a[40:43], v50, s[12:15], 0 offen offset:2048// 000000007FC0: E05C1800 80832832
	v_mfma_i32_16x16x32_i8 v[244:247], a[164:165], v[164:165], v[244:247]// 000000007FC8: D3D700F4 0FD349A4
	v_mfma_i32_16x16x32_i8 v[244:247], a[166:167], v[166:167], v[244:247]// 000000007FD0: D3D700F4 0FD34DA6
	v_mfma_i32_16x16x32_i8 v[244:247], a[168:169], v[168:169], v[244:247]// 000000007FD8: D3D700F4 0FD351A8
	v_mfma_i32_16x16x32_i8 v[244:247], a[170:171], v[170:171], v[244:247]// 000000007FE0: D3D700F4 0FD355AA
	buffer_load_dwordx4 a[44:47], v50, s[12:15], 0 offen offset:3072// 000000007FE8: E05C1C00 80832C32
	v_mfma_i32_16x16x32_i8 v[244:247], a[172:173], v[172:173], v[244:247]// 000000007FF0: D3D700F4 0FD359AC
	v_mfma_i32_16x16x32_i8 v[244:247], a[174:175], v[174:175], v[244:247]// 000000007FF8: D3D700F4 0FD35DAE
	v_mfma_i32_16x16x32_i8 v[248:251], a[176:177], v[128:129], 0// 000000008000: D3D700F8 0A0301B0
	v_mfma_i32_16x16x32_i8 v[248:251], a[178:179], v[130:131], v[248:251]// 000000008008: D3D700F8 0FE305B2
	buffer_load_dwordx4 a[48:51], v51, s[12:15], 0 offen       // 000000008010: E05C1000 80833033
	v_mfma_i32_16x16x32_i8 v[248:251], a[180:181], v[132:133], v[248:251]// 000000008018: D3D700F8 0FE309B4
	v_mfma_i32_16x16x32_i8 v[248:251], a[182:183], v[134:135], v[248:251]// 000000008020: D3D700F8 0FE30DB6
	v_mfma_i32_16x16x32_i8 v[248:251], a[184:185], v[136:137], v[248:251]// 000000008028: D3D700F8 0FE311B8
	v_mfma_i32_16x16x32_i8 v[248:251], a[186:187], v[138:139], v[248:251]// 000000008030: D3D700F8 0FE315BA
	buffer_load_dwordx4 a[52:55], v51, s[12:15], 0 offen offset:1024// 000000008038: E05C1400 80833433
	v_mfma_i32_16x16x32_i8 v[248:251], a[188:189], v[140:141], v[248:251]// 000000008040: D3D700F8 0FE319BC
	v_mfma_i32_16x16x32_i8 v[248:251], a[190:191], v[142:143], v[248:251]// 000000008048: D3D700F8 0FE31DBE
	v_mfma_i32_16x16x32_i8 v[252:255], a[176:177], v[160:161], 0// 000000008050: D3D700FC 0A0341B0
	v_mfma_i32_16x16x32_i8 v[252:255], a[178:179], v[162:163], v[252:255]// 000000008058: D3D700FC 0FF345B2
	buffer_load_dwordx4 a[56:59], v51, s[12:15], 0 offen offset:2048// 000000008060: E05C1800 80833833
	v_mfma_i32_16x16x32_i8 v[252:255], a[180:181], v[164:165], v[252:255]// 000000008068: D3D700FC 0FF349B4
	v_mfma_i32_16x16x32_i8 v[252:255], a[182:183], v[166:167], v[252:255]// 000000008070: D3D700FC 0FF34DB6
	v_mfma_i32_16x16x32_i8 v[252:255], a[184:185], v[168:169], v[252:255]// 000000008078: D3D700FC 0FF351B8
	v_mfma_i32_16x16x32_i8 v[252:255], a[186:187], v[170:171], v[252:255]// 000000008080: D3D700FC 0FF355BA
	buffer_load_dwordx4 a[60:63], v51, s[12:15], 0 offen offset:3072// 000000008088: E05C1C00 80833C33
	s_add_u32 s12, s78, s12                                    // 000000008090: 800C0C4E
	s_addc_u32 s13, 0, s13                                     // 000000008094: 820D0D80
	v_mfma_i32_16x16x32_i8 v[252:255], a[188:189], v[172:173], v[252:255]// 000000008098: D3D700FC 0FF359BC
	v_mfma_i32_16x16x32_i8 v[252:255], a[190:191], v[174:175], v[252:255]// 0000000080A0: D3D700FC 0FF35DBE
	s_waitcnt vmcnt(25)                                        // 0000000080A8: BF8C4F79
	v_mfma_i32_16x16x32_i8 v[224:227], a[192:193], v[144:145], v[224:227]// 0000000080AC: D3D700E0 0F8321C0
	ds_write_b64 v3, v[192:193] offset:18432                   // 0000000080B4: D89A4800 0000C003
	v_mfma_i32_16x16x32_i8 v[224:227], a[194:195], v[146:147], v[224:227]// 0000000080BC: D3D700E0 0F8325C2
	buffer_load_dwordx4 a[64:67], v48, s[12:15], 0 offen       // 0000000080C4: E05C1000 80834030
	v_mfma_i32_16x16x32_i8 v[224:227], a[196:197], v[148:149], v[224:227]// 0000000080CC: D3D700E0 0F8329C4
	ds_write_b64 v3, v[194:195] offset:27136                   // 0000000080D4: D89A6A00 0000C203
	v_mfma_i32_16x16x32_i8 v[224:227], a[198:199], v[150:151], v[224:227]// 0000000080DC: D3D700E0 0F832DC6
	v_mfma_i32_16x16x32_i8 v[224:227], a[200:201], v[152:153], v[224:227]// 0000000080E4: D3D700E0 0F8331C8
	ds_write_b64 v3, v[196:197] offset:20608                   // 0000000080EC: D89A5080 0000C403
	v_mfma_i32_16x16x32_i8 v[224:227], a[202:203], v[154:155], v[224:227]// 0000000080F4: D3D700E0 0F8335CA
	buffer_load_dwordx4 a[68:71], v48, s[12:15], 0 offen offset:1024// 0000000080FC: E05C1400 80834430
	v_mfma_i32_16x16x32_i8 v[224:227], a[204:205], v[156:157], v[224:227]// 000000008104: D3D700E0 0F8339CC
	ds_write_b64 v3, v[198:199] offset:29312                   // 00000000810C: D89A7280 0000C603
	v_mfma_i32_16x16x32_i8 v[224:227], a[206:207], v[158:159], v[224:227]// 000000008114: D3D700E0 0F833DCE
	v_mfma_i32_16x16x32_i8 v[228:231], a[192:193], v[176:177], v[228:231]// 00000000811C: D3D700E4 0F9361C0
	ds_write_b64 v3, v[200:201] offset:22784                   // 000000008124: D89A5900 0000C803
	v_mfma_i32_16x16x32_i8 v[228:231], a[194:195], v[178:179], v[228:231]// 00000000812C: D3D700E4 0F9365C2
	buffer_load_dwordx4 a[72:75], v48, s[12:15], 0 offen offset:2048// 000000008134: E05C1800 80834830
	v_mfma_i32_16x16x32_i8 v[228:231], a[196:197], v[180:181], v[228:231]// 00000000813C: D3D700E4 0F9369C4
	ds_write_b64 v3, v[202:203] offset:31488                   // 000000008144: D89A7B00 0000CA03
	v_mfma_i32_16x16x32_i8 v[228:231], a[198:199], v[182:183], v[228:231]// 00000000814C: D3D700E4 0F936DC6
	v_mfma_i32_16x16x32_i8 v[228:231], a[200:201], v[184:185], v[228:231]// 000000008154: D3D700E4 0F9371C8
	ds_write_b64 v3, v[204:205] offset:24960                   // 00000000815C: D89A6180 0000CC03
	v_mfma_i32_16x16x32_i8 v[228:231], a[202:203], v[186:187], v[228:231]// 000000008164: D3D700E4 0F9375CA
	buffer_load_dwordx4 a[76:79], v48, s[12:15], 0 offen offset:3072// 00000000816C: E05C1C00 80834C30
	v_mfma_i32_16x16x32_i8 v[228:231], a[204:205], v[188:189], v[228:231]// 000000008174: D3D700E4 0F9379CC
	ds_write_b64 v3, v[206:207] offset:33664                   // 00000000817C: D89A8380 0000CE03
	v_mfma_i32_16x16x32_i8 v[228:231], a[206:207], v[190:191], v[228:231]// 000000008184: D3D700E4 0F937DCE
	v_mfma_i32_16x16x32_i8 v[232:235], a[208:209], v[144:145], v[232:235]// 00000000818C: D3D700E8 0FA321D0
	v_mfma_i32_16x16x32_i8 v[232:235], a[210:211], v[146:147], v[232:235]// 000000008194: D3D700E8 0FA325D2
	buffer_load_dwordx4 a[80:83], v49, s[12:15], 0 offen       // 00000000819C: E05C1000 80835031
	v_mfma_i32_16x16x32_i8 v[232:235], a[212:213], v[148:149], v[232:235]// 0000000081A4: D3D700E8 0FA329D4
	v_mfma_i32_16x16x32_i8 v[232:235], a[214:215], v[150:151], v[232:235]// 0000000081AC: D3D700E8 0FA32DD6
	v_mfma_i32_16x16x32_i8 v[232:235], a[216:217], v[152:153], v[232:235]// 0000000081B4: D3D700E8 0FA331D8
	v_mfma_i32_16x16x32_i8 v[232:235], a[218:219], v[154:155], v[232:235]// 0000000081BC: D3D700E8 0FA335DA
	buffer_load_dwordx4 a[84:87], v49, s[12:15], 0 offen offset:1024// 0000000081C4: E05C1400 80835431
	v_mfma_i32_16x16x32_i8 v[232:235], a[220:221], v[156:157], v[232:235]// 0000000081CC: D3D700E8 0FA339DC
	v_mfma_i32_16x16x32_i8 v[232:235], a[222:223], v[158:159], v[232:235]// 0000000081D4: D3D700E8 0FA33DDE
	v_mfma_i32_16x16x32_i8 v[236:239], a[208:209], v[176:177], v[236:239]// 0000000081DC: D3D700EC 0FB361D0
	v_mfma_i32_16x16x32_i8 v[236:239], a[210:211], v[178:179], v[236:239]// 0000000081E4: D3D700EC 0FB365D2
	buffer_load_dwordx4 a[88:91], v49, s[12:15], 0 offen offset:2048// 0000000081EC: E05C1800 80835831
	v_mfma_i32_16x16x32_i8 v[236:239], a[212:213], v[180:181], v[236:239]// 0000000081F4: D3D700EC 0FB369D4
	v_mfma_i32_16x16x32_i8 v[236:239], a[214:215], v[182:183], v[236:239]// 0000000081FC: D3D700EC 0FB36DD6
	v_mfma_i32_16x16x32_i8 v[236:239], a[216:217], v[184:185], v[236:239]// 000000008204: D3D700EC 0FB371D8
	v_mfma_i32_16x16x32_i8 v[236:239], a[218:219], v[186:187], v[236:239]// 00000000820C: D3D700EC 0FB375DA
	buffer_load_dwordx4 a[92:95], v49, s[12:15], 0 offen offset:3072// 000000008214: E05C1C00 80835C31
	v_mfma_i32_16x16x32_i8 v[236:239], a[220:221], v[188:189], v[236:239]// 00000000821C: D3D700EC 0FB379DC
	v_mfma_i32_16x16x32_i8 v[236:239], a[222:223], v[190:191], v[236:239]// 000000008224: D3D700EC 0FB37DDE
	s_waitcnt vmcnt(24)                                        // 00000000822C: BF8C4F78
	v_mfma_i32_16x16x32_i8 v[240:243], a[224:225], v[144:145], v[240:243]// 000000008230: D3D700F0 0FC321E0
	v_mfma_i32_16x16x32_i8 v[240:243], a[226:227], v[146:147], v[240:243]// 000000008238: D3D700F0 0FC325E2
	buffer_load_dwordx4 a[96:99], v50, s[12:15], 0 offen       // 000000008240: E05C1000 80836032
	v_mfma_i32_16x16x32_i8 v[240:243], a[228:229], v[148:149], v[240:243]// 000000008248: D3D700F0 0FC329E4
	v_mfma_i32_16x16x32_i8 v[240:243], a[230:231], v[150:151], v[240:243]// 000000008250: D3D700F0 0FC32DE6
	buffer_load_dword v12, v5, s[16:19], 0 offen               // 000000008258: E0501000 80040C05
	v_mfma_i32_16x16x32_i8 v[240:243], a[232:233], v[152:153], v[240:243]// 000000008260: D3D700F0 0FC331E8
	v_mfma_i32_16x16x32_i8 v[240:243], a[234:235], v[154:155], v[240:243]// 000000008268: D3D700F0 0FC335EA
	buffer_load_dwordx4 a[100:103], v50, s[12:15], 0 offen offset:1024// 000000008270: E05C1400 80836432
	v_mfma_i32_16x16x32_i8 v[240:243], a[236:237], v[156:157], v[240:243]// 000000008278: D3D700F0 0FC339EC
	v_mfma_i32_16x16x32_i8 v[240:243], a[238:239], v[158:159], v[240:243]// 000000008280: D3D700F0 0FC33DEE
	v_mfma_i32_16x16x32_i8 v[244:247], a[224:225], v[176:177], v[244:247]// 000000008288: D3D700F4 0FD361E0
	v_mfma_i32_16x16x32_i8 v[244:247], a[226:227], v[178:179], v[244:247]// 000000008290: D3D700F4 0FD365E2
	buffer_load_dwordx4 a[104:107], v50, s[12:15], 0 offen offset:2048// 000000008298: E05C1800 80836832
	v_mfma_i32_16x16x32_i8 v[244:247], a[228:229], v[180:181], v[244:247]// 0000000082A0: D3D700F4 0FD369E4
	s_add_u32 s60, 0x200, s80                                  // 0000000082A8: 803C50FF 00000200
	s_cmp_lt_u32 s60, s81                                      // 0000000082B0: BF0A513C
	v_mfma_i32_16x16x32_i8 v[244:247], a[230:231], v[182:183], v[244:247]// 0000000082B4: D3D700F4 0FD36DE6
	s_cselect_b32 s56, s56, 0                                  // 0000000082BC: 85388038
	s_cselect_b32 s78, s78, 0                                  // 0000000082C0: 854E804E
	s_cselect_b32 s79, s79, 0                                  // 0000000082C4: 854F804F
	v_mfma_i32_16x16x32_i8 v[244:247], a[232:233], v[184:185], v[244:247]// 0000000082C8: D3D700F4 0FD371E8
	v_mfma_i32_16x16x32_i8 v[244:247], a[234:235], v[186:187], v[244:247]// 0000000082D0: D3D700F4 0FD375EA
	buffer_load_dwordx4 a[108:111], v50, s[12:15], 0 offen offset:3072// 0000000082D8: E05C1C00 80836C32
	v_mfma_i32_16x16x32_i8 v[244:247], a[236:237], v[188:189], v[244:247]// 0000000082E0: D3D700F4 0FD379EC
	s_add_u32 s16, s79, s16                                    // 0000000082E8: 8010104F
	s_addc_u32 s17, 0, s17                                     // 0000000082EC: 82111180
	v_mfma_i32_16x16x32_i8 v[244:247], a[238:239], v[190:191], v[244:247]// 0000000082F0: D3D700F4 0FD37DEE
	v_mfma_i32_16x16x32_i8 v[248:251], a[240:241], v[144:145], v[248:251]// 0000000082F8: D3D700F8 0FE321F0
	v_mfma_i32_16x16x32_i8 v[248:251], a[242:243], v[146:147], v[248:251]// 000000008300: D3D700F8 0FE325F2
	buffer_load_dwordx4 a[112:115], v51, s[12:15], 0 offen     // 000000008308: E05C1000 80837033
	v_mfma_i32_16x16x32_i8 v[248:251], a[244:245], v[148:149], v[248:251]// 000000008310: D3D700F8 0FE329F4
	v_mfma_i32_16x16x32_i8 v[248:251], a[246:247], v[150:151], v[248:251]// 000000008318: D3D700F8 0FE32DF6
	v_mfma_i32_16x16x32_i8 v[248:251], a[248:249], v[152:153], v[248:251]// 000000008320: D3D700F8 0FE331F8
	v_mfma_i32_16x16x32_i8 v[248:251], a[250:251], v[154:155], v[248:251]// 000000008328: D3D700F8 0FE335FA
	buffer_load_dwordx4 a[116:119], v51, s[12:15], 0 offen offset:1024// 000000008330: E05C1400 80837433
	v_mfma_i32_16x16x32_i8 v[248:251], a[252:253], v[156:157], v[248:251]// 000000008338: D3D700F8 0FE339FC
	v_mfma_i32_16x16x32_i8 v[248:251], a[254:255], v[158:159], v[248:251]// 000000008340: D3D700F8 0FE33DFE
	v_mfma_i32_16x16x32_i8 v[252:255], a[240:241], v[176:177], v[252:255]// 000000008348: D3D700FC 0FF361F0
	v_mfma_i32_16x16x32_i8 v[252:255], a[242:243], v[178:179], v[252:255]// 000000008350: D3D700FC 0FF365F2
	buffer_load_dwordx4 a[120:123], v51, s[12:15], 0 offen offset:2048// 000000008358: E05C1800 80837833
	v_mfma_i32_16x16x32_i8 v[252:255], a[244:245], v[180:181], v[252:255]// 000000008360: D3D700FC 0FF369F4
	v_mfma_i32_16x16x32_i8 v[252:255], a[246:247], v[182:183], v[252:255]// 000000008368: D3D700FC 0FF36DF6
	v_mfma_i32_16x16x32_i8 v[252:255], a[248:249], v[184:185], v[252:255]// 000000008370: D3D700FC 0FF371F8
	v_mfma_i32_16x16x32_i8 v[252:255], a[250:251], v[186:187], v[252:255]// 000000008378: D3D700FC 0FF375FA
	buffer_load_dwordx4 a[124:127], v51, s[12:15], 0 offen offset:3072// 000000008380: E05C1C00 80837C33
	v_mfma_i32_16x16x32_i8 v[252:255], a[252:253], v[188:189], v[252:255]// 000000008388: D3D700FC 0FF379FC
	s_add_u32 s12, s56, s12                                    // 000000008390: 800C0C38
	s_addc_u32 s13, 0, s13                                     // 000000008394: 820D0D80
	v_mfma_i32_16x16x32_i8 v[252:255], a[254:255], v[190:191], v[252:255]// 000000008398: D3D700FC 0FF37DFE
	v_mov_b32_e32 v96, v24                                     // 0000000083A0: 7EC00318
	v_mov_b32_e32 v100, v20                                    // 0000000083A4: 7EC80314
	v_mov_b32_e32 v97, v24                                     // 0000000083A8: 7EC20318
	v_mov_b32_e32 v101, v20                                    // 0000000083AC: 7ECA0314
	v_mov_b32_e32 v98, v25                                     // 0000000083B0: 7EC40319
	v_mov_b32_e32 v102, v21                                    // 0000000083B4: 7ECC0315
	v_mov_b32_e32 v99, v25                                     // 0000000083B8: 7EC60319
	v_mov_b32_e32 v103, v21                                    // 0000000083BC: 7ECE0315
	v_cvt_f32_i32_e32 v224, v224                               // 0000000083C0: 7FC00BE0
	v_cvt_f32_i32_e32 v225, v225                               // 0000000083C4: 7FC20BE1
	v_cvt_f32_i32_e32 v226, v226                               // 0000000083C8: 7FC40BE2
	v_cvt_f32_i32_e32 v227, v227                               // 0000000083CC: 7FC60BE3
	v_pk_mul_f32 v[224:225], v[96:97], v[224:225]              // 0000000083D0: D3B140E0 1803C160
	v_pk_mul_f32 v[226:227], v[96:97], v[226:227]              // 0000000083D8: D3B140E2 1803C560
	v_mul_f32_dpp v224, v13, v224 row_newbcast:0 row_mask:0xf bank_mask:0xf// 0000000083E0: 0BC1C0FA FF01500D
	v_mul_f32_dpp v225, v13, v225 row_newbcast:1 row_mask:0xf bank_mask:0xf// 0000000083E8: 0BC3C2FA FF01510D
	v_mul_f32_dpp v226, v13, v226 row_newbcast:2 row_mask:0xf bank_mask:0xf// 0000000083F0: 0BC5C4FA FF01520D
	v_mul_f32_dpp v227, v13, v227 row_newbcast:3 row_mask:0xf bank_mask:0xf// 0000000083F8: 0BC7C6FA FF01530D
	v_pk_mul_f32 v[224:225], v[100:101], v[224:225]            // 000000008400: D3B140E0 1803C164
	v_pk_mul_f32 v[226:227], v[100:101], v[226:227]            // 000000008408: D3B140E2 1803C564
	v_cvt_f32_i32_e32 v228, v228                               // 000000008410: 7FC80BE4
	v_cvt_f32_i32_e32 v229, v229                               // 000000008414: 7FCA0BE5
	v_cvt_f32_i32_e32 v230, v230                               // 000000008418: 7FCC0BE6
	v_cvt_f32_i32_e32 v231, v231                               // 00000000841C: 7FCE0BE7
	v_pk_mul_f32 v[228:229], v[98:99], v[228:229]              // 000000008420: D3B140E4 1803C962
	v_pk_mul_f32 v[230:231], v[98:99], v[230:231]              // 000000008428: D3B140E6 1803CD62
	v_mul_f32_dpp v228, v13, v228 row_newbcast:0 row_mask:0xf bank_mask:0xf// 000000008430: 0BC9C8FA FF01500D
	v_mul_f32_dpp v229, v13, v229 row_newbcast:1 row_mask:0xf bank_mask:0xf// 000000008438: 0BCBCAFA FF01510D
	v_mul_f32_dpp v230, v13, v230 row_newbcast:2 row_mask:0xf bank_mask:0xf// 000000008440: 0BCDCCFA FF01520D
	v_mul_f32_dpp v231, v13, v231 row_newbcast:3 row_mask:0xf bank_mask:0xf// 000000008448: 0BCFCEFA FF01530D
	v_pk_mul_f32 v[228:229], v[102:103], v[228:229]            // 000000008450: D3B140E4 1803C966
	v_pk_mul_f32 v[230:231], v[102:103], v[230:231]            // 000000008458: D3B140E6 1803CD66
	v_cvt_f32_i32_e32 v232, v232                               // 000000008460: 7FD00BE8
	v_cvt_f32_i32_e32 v233, v233                               // 000000008464: 7FD20BE9
	v_cvt_f32_i32_e32 v234, v234                               // 000000008468: 7FD40BEA
	v_cvt_f32_i32_e32 v235, v235                               // 00000000846C: 7FD60BEB
	v_pk_mul_f32 v[232:233], v[96:97], v[232:233]              // 000000008470: D3B140E8 1803D160
	v_pk_mul_f32 v[234:235], v[96:97], v[234:235]              // 000000008478: D3B140EA 1803D560
	v_mul_f32_dpp v232, v13, v232 row_newbcast:4 row_mask:0xf bank_mask:0xf// 000000008480: 0BD1D0FA FF01540D
	v_mul_f32_dpp v233, v13, v233 row_newbcast:5 row_mask:0xf bank_mask:0xf// 000000008488: 0BD3D2FA FF01550D
	v_mul_f32_dpp v234, v13, v234 row_newbcast:6 row_mask:0xf bank_mask:0xf// 000000008490: 0BD5D4FA FF01560D
	v_mul_f32_dpp v235, v13, v235 row_newbcast:7 row_mask:0xf bank_mask:0xf// 000000008498: 0BD7D6FA FF01570D
	v_pk_mul_f32 v[232:233], v[100:101], v[232:233]            // 0000000084A0: D3B140E8 1803D164
	v_pk_mul_f32 v[234:235], v[100:101], v[234:235]            // 0000000084A8: D3B140EA 1803D564
	v_cvt_f32_i32_e32 v236, v236                               // 0000000084B0: 7FD80BEC
	v_cvt_f32_i32_e32 v237, v237                               // 0000000084B4: 7FDA0BED
	v_cvt_f32_i32_e32 v238, v238                               // 0000000084B8: 7FDC0BEE
	v_cvt_f32_i32_e32 v239, v239                               // 0000000084BC: 7FDE0BEF
	v_pk_mul_f32 v[236:237], v[98:99], v[236:237]              // 0000000084C0: D3B140EC 1803D962
	v_pk_mul_f32 v[238:239], v[98:99], v[238:239]              // 0000000084C8: D3B140EE 1803DD62
	v_mul_f32_dpp v236, v13, v236 row_newbcast:4 row_mask:0xf bank_mask:0xf// 0000000084D0: 0BD9D8FA FF01540D
	v_mul_f32_dpp v237, v13, v237 row_newbcast:5 row_mask:0xf bank_mask:0xf// 0000000084D8: 0BDBDAFA FF01550D
	v_mul_f32_dpp v238, v13, v238 row_newbcast:6 row_mask:0xf bank_mask:0xf// 0000000084E0: 0BDDDCFA FF01560D
	v_mul_f32_dpp v239, v13, v239 row_newbcast:7 row_mask:0xf bank_mask:0xf// 0000000084E8: 0BDFDEFA FF01570D
	v_pk_mul_f32 v[236:237], v[102:103], v[236:237]            // 0000000084F0: D3B140EC 1803D966
	v_pk_mul_f32 v[238:239], v[102:103], v[238:239]            // 0000000084F8: D3B140EE 1803DD66
	v_cvt_f32_i32_e32 v240, v240                               // 000000008500: 7FE00BF0
	v_cvt_f32_i32_e32 v241, v241                               // 000000008504: 7FE20BF1
	v_cvt_f32_i32_e32 v242, v242                               // 000000008508: 7FE40BF2
	v_cvt_f32_i32_e32 v243, v243                               // 00000000850C: 7FE60BF3
	v_pk_mul_f32 v[240:241], v[96:97], v[240:241]              // 000000008510: D3B140F0 1803E160
	v_pk_mul_f32 v[242:243], v[96:97], v[242:243]              // 000000008518: D3B140F2 1803E560
	v_mul_f32_dpp v240, v13, v240 row_newbcast:8 row_mask:0xf bank_mask:0xf// 000000008520: 0BE1E0FA FF01580D
	v_mul_f32_dpp v241, v13, v241 row_newbcast:9 row_mask:0xf bank_mask:0xf// 000000008528: 0BE3E2FA FF01590D
	v_mul_f32_dpp v242, v13, v242 row_newbcast:10 row_mask:0xf bank_mask:0xf// 000000008530: 0BE5E4FA FF015A0D
	v_mul_f32_dpp v243, v13, v243 row_newbcast:11 row_mask:0xf bank_mask:0xf// 000000008538: 0BE7E6FA FF015B0D
	v_pk_mul_f32 v[240:241], v[100:101], v[240:241]            // 000000008540: D3B140F0 1803E164
	v_pk_mul_f32 v[242:243], v[100:101], v[242:243]            // 000000008548: D3B140F2 1803E564
	v_cvt_f32_i32_e32 v244, v244                               // 000000008550: 7FE80BF4
	v_cvt_f32_i32_e32 v245, v245                               // 000000008554: 7FEA0BF5
	v_cvt_f32_i32_e32 v246, v246                               // 000000008558: 7FEC0BF6
	v_cvt_f32_i32_e32 v247, v247                               // 00000000855C: 7FEE0BF7
	v_pk_mul_f32 v[244:245], v[98:99], v[244:245]              // 000000008560: D3B140F4 1803E962
	v_pk_mul_f32 v[246:247], v[98:99], v[246:247]              // 000000008568: D3B140F6 1803ED62
	v_mul_f32_dpp v244, v13, v244 row_newbcast:8 row_mask:0xf bank_mask:0xf// 000000008570: 0BE9E8FA FF01580D
	v_mul_f32_dpp v245, v13, v245 row_newbcast:9 row_mask:0xf bank_mask:0xf// 000000008578: 0BEBEAFA FF01590D
	v_mul_f32_dpp v246, v13, v246 row_newbcast:10 row_mask:0xf bank_mask:0xf// 000000008580: 0BEDECFA FF015A0D
	v_mul_f32_dpp v247, v13, v247 row_newbcast:11 row_mask:0xf bank_mask:0xf// 000000008588: 0BEFEEFA FF015B0D
	v_pk_mul_f32 v[244:245], v[102:103], v[244:245]            // 000000008590: D3B140F4 1803E966
	v_pk_mul_f32 v[246:247], v[102:103], v[246:247]            // 000000008598: D3B140F6 1803ED66
	v_cvt_f32_i32_e32 v248, v248                               // 0000000085A0: 7FF00BF8
	v_cvt_f32_i32_e32 v249, v249                               // 0000000085A4: 7FF20BF9
	v_cvt_f32_i32_e32 v250, v250                               // 0000000085A8: 7FF40BFA
	v_cvt_f32_i32_e32 v251, v251                               // 0000000085AC: 7FF60BFB
	v_pk_mul_f32 v[248:249], v[96:97], v[248:249]              // 0000000085B0: D3B140F8 1803F160
	v_pk_mul_f32 v[250:251], v[96:97], v[250:251]              // 0000000085B8: D3B140FA 1803F560
	v_mul_f32_dpp v248, v13, v248 row_newbcast:12 row_mask:0xf bank_mask:0xf// 0000000085C0: 0BF1F0FA FF015C0D
	v_mul_f32_dpp v249, v13, v249 row_newbcast:13 row_mask:0xf bank_mask:0xf// 0000000085C8: 0BF3F2FA FF015D0D
	v_mul_f32_dpp v250, v13, v250 row_newbcast:14 row_mask:0xf bank_mask:0xf// 0000000085D0: 0BF5F4FA FF015E0D
	v_mul_f32_dpp v251, v13, v251 row_newbcast:15 row_mask:0xf bank_mask:0xf// 0000000085D8: 0BF7F6FA FF015F0D
	v_pk_mul_f32 v[248:249], v[100:101], v[248:249]            // 0000000085E0: D3B140F8 1803F164
	v_pk_mul_f32 v[250:251], v[100:101], v[250:251]            // 0000000085E8: D3B140FA 1803F564
	v_cvt_f32_i32_e32 v252, v252                               // 0000000085F0: 7FF80BFC
	v_cvt_f32_i32_e32 v253, v253                               // 0000000085F4: 7FFA0BFD
	v_cvt_f32_i32_e32 v254, v254                               // 0000000085F8: 7FFC0BFE
	v_cvt_f32_i32_e32 v255, v255                               // 0000000085FC: 7FFE0BFF
	v_pk_mul_f32 v[252:253], v[98:99], v[252:253]              // 000000008600: D3B140FC 1803F962
	v_pk_mul_f32 v[254:255], v[98:99], v[254:255]              // 000000008608: D3B140FE 1803FD62
	v_mul_f32_dpp v252, v13, v252 row_newbcast:12 row_mask:0xf bank_mask:0xf// 000000008610: 0BF9F8FA FF015C0D
	v_mul_f32_dpp v253, v13, v253 row_newbcast:13 row_mask:0xf bank_mask:0xf// 000000008618: 0BFBFAFA FF015D0D
	v_mul_f32_dpp v254, v13, v254 row_newbcast:14 row_mask:0xf bank_mask:0xf// 000000008620: 0BFDFCFA FF015E0D
	v_mul_f32_dpp v255, v13, v255 row_newbcast:15 row_mask:0xf bank_mask:0xf// 000000008628: 0BFFFEFA FF015F0D
	v_pk_mul_f32 v[252:253], v[102:103], v[252:253]            // 000000008630: D3B140FC 1803F966
	v_pk_mul_f32 v[254:255], v[102:103], v[254:255]            // 000000008638: D3B140FE 1803FD66
	v_cmp_u_f32_e64 s[48:49], v224, v224                       // 000000008640: D0480030 0003C1E0
	v_add3_u32 v56, v224, v59, 1                               // 000000008648: D1FF0038 020677E0
	v_cndmask_b32_e64 v44, v56, v58, s[48:49]                  // 000000008650: D100002C 00C27538
	v_cmp_u_f32_e64 s[48:49], v225, v225                       // 000000008658: D0480030 0003C3E1
	v_add3_u32 v56, v225, v59, 1                               // 000000008660: D1FF0038 020677E1
	v_cndmask_b32_e64 v45, v56, v58, s[48:49]                  // 000000008668: D100002D 00C27538
	v_perm_b32 v224, v45, v44, s52                             // 000000008670: D1ED00E0 00D2592D
	v_cmp_u_f32_e64 s[48:49], v226, v226                       // 000000008678: D0480030 0003C5E2
	v_add3_u32 v56, v226, v59, 1                               // 000000008680: D1FF0038 020677E2
	v_cndmask_b32_e64 v44, v56, v58, s[48:49]                  // 000000008688: D100002C 00C27538
	v_cmp_u_f32_e64 s[48:49], v227, v227                       // 000000008690: D0480030 0003C7E3
	v_add3_u32 v56, v227, v59, 1                               // 000000008698: D1FF0038 020677E3
	v_cndmask_b32_e64 v45, v56, v58, s[48:49]                  // 0000000086A0: D100002D 00C27538
	v_perm_b32 v225, v45, v44, s52                             // 0000000086A8: D1ED00E1 00D2592D
	v_cmp_u_f32_e64 s[48:49], v228, v228                       // 0000000086B0: D0480030 0003C9E4
	v_add3_u32 v56, v228, v59, 1                               // 0000000086B8: D1FF0038 020677E4
	v_cndmask_b32_e64 v44, v56, v58, s[48:49]                  // 0000000086C0: D100002C 00C27538
	v_cmp_u_f32_e64 s[48:49], v229, v229                       // 0000000086C8: D0480030 0003CBE5
	v_add3_u32 v56, v229, v59, 1                               // 0000000086D0: D1FF0038 020677E5
	v_cndmask_b32_e64 v45, v56, v58, s[48:49]                  // 0000000086D8: D100002D 00C27538
	v_perm_b32 v226, v45, v44, s52                             // 0000000086E0: D1ED00E2 00D2592D
	v_cmp_u_f32_e64 s[48:49], v230, v230                       // 0000000086E8: D0480030 0003CDE6
	v_add3_u32 v56, v230, v59, 1                               // 0000000086F0: D1FF0038 020677E6
	v_cndmask_b32_e64 v44, v56, v58, s[48:49]                  // 0000000086F8: D100002C 00C27538
	v_cmp_u_f32_e64 s[48:49], v231, v231                       // 000000008700: D0480030 0003CFE7
	v_add3_u32 v56, v231, v59, 1                               // 000000008708: D1FF0038 020677E7
	v_cndmask_b32_e64 v45, v56, v58, s[48:49]                  // 000000008710: D100002D 00C27538
	v_perm_b32 v227, v45, v44, s52                             // 000000008718: D1ED00E3 00D2592D
	v_cmp_u_f32_e64 s[48:49], v232, v232                       // 000000008720: D0480030 0003D1E8
	v_add3_u32 v56, v232, v59, 1                               // 000000008728: D1FF0038 020677E8
	v_cndmask_b32_e64 v44, v56, v58, s[48:49]                  // 000000008730: D100002C 00C27538
	v_cmp_u_f32_e64 s[48:49], v233, v233                       // 000000008738: D0480030 0003D3E9
	v_add3_u32 v56, v233, v59, 1                               // 000000008740: D1FF0038 020677E9
	v_cndmask_b32_e64 v45, v56, v58, s[48:49]                  // 000000008748: D100002D 00C27538
	v_perm_b32 v228, v45, v44, s52                             // 000000008750: D1ED00E4 00D2592D
	v_cmp_u_f32_e64 s[48:49], v234, v234                       // 000000008758: D0480030 0003D5EA
	v_add3_u32 v56, v234, v59, 1                               // 000000008760: D1FF0038 020677EA
	v_cndmask_b32_e64 v44, v56, v58, s[48:49]                  // 000000008768: D100002C 00C27538
	v_cmp_u_f32_e64 s[48:49], v235, v235                       // 000000008770: D0480030 0003D7EB
	v_add3_u32 v56, v235, v59, 1                               // 000000008778: D1FF0038 020677EB
	v_cndmask_b32_e64 v45, v56, v58, s[48:49]                  // 000000008780: D100002D 00C27538
	v_perm_b32 v229, v45, v44, s52                             // 000000008788: D1ED00E5 00D2592D
	v_cmp_u_f32_e64 s[48:49], v236, v236                       // 000000008790: D0480030 0003D9EC
	v_add3_u32 v56, v236, v59, 1                               // 000000008798: D1FF0038 020677EC
	v_cndmask_b32_e64 v44, v56, v58, s[48:49]                  // 0000000087A0: D100002C 00C27538
	v_cmp_u_f32_e64 s[48:49], v237, v237                       // 0000000087A8: D0480030 0003DBED
	v_add3_u32 v56, v237, v59, 1                               // 0000000087B0: D1FF0038 020677ED
	v_cndmask_b32_e64 v45, v56, v58, s[48:49]                  // 0000000087B8: D100002D 00C27538
	v_perm_b32 v230, v45, v44, s52                             // 0000000087C0: D1ED00E6 00D2592D
	v_cmp_u_f32_e64 s[48:49], v238, v238                       // 0000000087C8: D0480030 0003DDEE
	v_add3_u32 v56, v238, v59, 1                               // 0000000087D0: D1FF0038 020677EE
	v_cndmask_b32_e64 v44, v56, v58, s[48:49]                  // 0000000087D8: D100002C 00C27538
	v_cmp_u_f32_e64 s[48:49], v239, v239                       // 0000000087E0: D0480030 0003DFEF
	v_add3_u32 v56, v239, v59, 1                               // 0000000087E8: D1FF0038 020677EF
	v_cndmask_b32_e64 v45, v56, v58, s[48:49]                  // 0000000087F0: D100002D 00C27538
	v_perm_b32 v231, v45, v44, s52                             // 0000000087F8: D1ED00E7 00D2592D
	v_cmp_u_f32_e64 s[48:49], v240, v240                       // 000000008800: D0480030 0003E1F0
	v_add3_u32 v56, v240, v59, 1                               // 000000008808: D1FF0038 020677F0
	v_cndmask_b32_e64 v44, v56, v58, s[48:49]                  // 000000008810: D100002C 00C27538
	v_cmp_u_f32_e64 s[48:49], v241, v241                       // 000000008818: D0480030 0003E3F1
	v_add3_u32 v56, v241, v59, 1                               // 000000008820: D1FF0038 020677F1
	v_cndmask_b32_e64 v45, v56, v58, s[48:49]                  // 000000008828: D100002D 00C27538
	v_perm_b32 v232, v45, v44, s52                             // 000000008830: D1ED00E8 00D2592D
	v_cmp_u_f32_e64 s[48:49], v242, v242                       // 000000008838: D0480030 0003E5F2
	v_add3_u32 v56, v242, v59, 1                               // 000000008840: D1FF0038 020677F2
	v_cndmask_b32_e64 v44, v56, v58, s[48:49]                  // 000000008848: D100002C 00C27538
	v_cmp_u_f32_e64 s[48:49], v243, v243                       // 000000008850: D0480030 0003E7F3
	v_add3_u32 v56, v243, v59, 1                               // 000000008858: D1FF0038 020677F3
	v_cndmask_b32_e64 v45, v56, v58, s[48:49]                  // 000000008860: D100002D 00C27538
	v_perm_b32 v233, v45, v44, s52                             // 000000008868: D1ED00E9 00D2592D
	v_cmp_u_f32_e64 s[48:49], v244, v244                       // 000000008870: D0480030 0003E9F4
	v_add3_u32 v56, v244, v59, 1                               // 000000008878: D1FF0038 020677F4
	v_cndmask_b32_e64 v44, v56, v58, s[48:49]                  // 000000008880: D100002C 00C27538
	v_cmp_u_f32_e64 s[48:49], v245, v245                       // 000000008888: D0480030 0003EBF5
	v_add3_u32 v56, v245, v59, 1                               // 000000008890: D1FF0038 020677F5
	v_cndmask_b32_e64 v45, v56, v58, s[48:49]                  // 000000008898: D100002D 00C27538
	v_perm_b32 v234, v45, v44, s52                             // 0000000088A0: D1ED00EA 00D2592D
	v_cmp_u_f32_e64 s[48:49], v246, v246                       // 0000000088A8: D0480030 0003EDF6
	v_add3_u32 v56, v246, v59, 1                               // 0000000088B0: D1FF0038 020677F6
	v_cndmask_b32_e64 v44, v56, v58, s[48:49]                  // 0000000088B8: D100002C 00C27538
	v_cmp_u_f32_e64 s[48:49], v247, v247                       // 0000000088C0: D0480030 0003EFF7
	v_add3_u32 v56, v247, v59, 1                               // 0000000088C8: D1FF0038 020677F7
	v_cndmask_b32_e64 v45, v56, v58, s[48:49]                  // 0000000088D0: D100002D 00C27538
	v_perm_b32 v235, v45, v44, s52                             // 0000000088D8: D1ED00EB 00D2592D
	v_cmp_u_f32_e64 s[48:49], v248, v248                       // 0000000088E0: D0480030 0003F1F8
	v_add3_u32 v56, v248, v59, 1                               // 0000000088E8: D1FF0038 020677F8
	v_cndmask_b32_e64 v44, v56, v58, s[48:49]                  // 0000000088F0: D100002C 00C27538
	v_cmp_u_f32_e64 s[48:49], v249, v249                       // 0000000088F8: D0480030 0003F3F9
	v_add3_u32 v56, v249, v59, 1                               // 000000008900: D1FF0038 020677F9
	v_cndmask_b32_e64 v45, v56, v58, s[48:49]                  // 000000008908: D100002D 00C27538
	v_perm_b32 v236, v45, v44, s52                             // 000000008910: D1ED00EC 00D2592D
	v_cmp_u_f32_e64 s[48:49], v250, v250                       // 000000008918: D0480030 0003F5FA
	v_add3_u32 v56, v250, v59, 1                               // 000000008920: D1FF0038 020677FA
	v_cndmask_b32_e64 v44, v56, v58, s[48:49]                  // 000000008928: D100002C 00C27538
	v_cmp_u_f32_e64 s[48:49], v251, v251                       // 000000008930: D0480030 0003F7FB
	v_add3_u32 v56, v251, v59, 1                               // 000000008938: D1FF0038 020677FB
	v_cndmask_b32_e64 v45, v56, v58, s[48:49]                  // 000000008940: D100002D 00C27538
	v_perm_b32 v237, v45, v44, s52                             // 000000008948: D1ED00ED 00D2592D
	v_cmp_u_f32_e64 s[48:49], v252, v252                       // 000000008950: D0480030 0003F9FC
	v_add3_u32 v56, v252, v59, 1                               // 000000008958: D1FF0038 020677FC
	v_cndmask_b32_e64 v44, v56, v58, s[48:49]                  // 000000008960: D100002C 00C27538
	v_cmp_u_f32_e64 s[48:49], v253, v253                       // 000000008968: D0480030 0003FBFD
	v_add3_u32 v56, v253, v59, 1                               // 000000008970: D1FF0038 020677FD
	v_cndmask_b32_e64 v45, v56, v58, s[48:49]                  // 000000008978: D100002D 00C27538
	v_perm_b32 v238, v45, v44, s52                             // 000000008980: D1ED00EE 00D2592D
	v_cmp_u_f32_e64 s[48:49], v254, v254                       // 000000008988: D0480030 0003FDFE
	v_add3_u32 v56, v254, v59, 1                               // 000000008990: D1FF0038 020677FE
	v_cndmask_b32_e64 v44, v56, v58, s[48:49]                  // 000000008998: D100002C 00C27538
	v_cmp_u_f32_e64 s[48:49], v255, v255                       // 0000000089A0: D0480030 0003FFFF
	v_add3_u32 v56, v255, v59, 1                               // 0000000089A8: D1FF0038 020677FF
	v_cndmask_b32_e64 v45, v56, v58, s[48:49]                  // 0000000089B0: D100002D 00C27538
	v_perm_b32 v239, v45, v44, s52                             // 0000000089B8: D1ED00EF 00D2592D
	s_setvskip s20, 0                                          // 0000000089C0: BF108014
	global_atomic_pk_add_bf16 v80, v64, s[8:9]                 // 0000000089C4: DD488000 00084050
	s_setvskip 0, 0                                            // 0000000089CC: BF108080
	s_setvskip s20, 0                                          // 0000000089D0: BF108014
	global_atomic_pk_add_bf16 v80, v65, s[8:9] offset:256      // 0000000089D4: DD488100 00084150
	s_setvskip 0, 0                                            // 0000000089DC: BF108080
	s_setvskip s20, 1                                          // 0000000089E0: BF108114
	global_atomic_pk_add_bf16 v82, v66, s[8:9]                 // 0000000089E4: DD488000 00084252
	s_setvskip 0, 0                                            // 0000000089EC: BF108080
	s_setvskip s20, 1                                          // 0000000089F0: BF108114
	global_atomic_pk_add_bf16 v82, v67, s[8:9] offset:256      // 0000000089F4: DD488100 00084352
	s_setvskip 0, 0                                            // 0000000089FC: BF108080
	s_setvskip s20, 2                                          // 000000008A00: BF108214
	global_atomic_pk_add_bf16 v84, v68, s[8:9]                 // 000000008A04: DD488000 00084454
	s_setvskip 0, 0                                            // 000000008A0C: BF108080
	s_setvskip s20, 2                                          // 000000008A10: BF108214
	global_atomic_pk_add_bf16 v84, v69, s[8:9] offset:256      // 000000008A14: DD488100 00084554
	s_setvskip 0, 0                                            // 000000008A1C: BF108080
	s_setvskip s20, 3                                          // 000000008A20: BF108314
	global_atomic_pk_add_bf16 v86, v70, s[8:9]                 // 000000008A24: DD488000 00084656
	s_setvskip 0, 0                                            // 000000008A2C: BF108080
	s_setvskip s20, 3                                          // 000000008A30: BF108314
	global_atomic_pk_add_bf16 v86, v71, s[8:9] offset:256      // 000000008A34: DD488100 00084756
	s_setvskip 0, 0                                            // 000000008A3C: BF108080
	s_setvskip s20, 4                                          // 000000008A40: BF108414
	global_atomic_pk_add_bf16 v88, v72, s[8:9]                 // 000000008A44: DD488000 00084858
	s_setvskip 0, 0                                            // 000000008A4C: BF108080
	s_setvskip s20, 4                                          // 000000008A50: BF108414
	global_atomic_pk_add_bf16 v88, v73, s[8:9] offset:256      // 000000008A54: DD488100 00084958
	s_setvskip 0, 0                                            // 000000008A5C: BF108080
	s_setvskip s20, 5                                          // 000000008A60: BF108514
	global_atomic_pk_add_bf16 v90, v74, s[8:9]                 // 000000008A64: DD488000 00084A5A
	s_setvskip 0, 0                                            // 000000008A6C: BF108080
	s_setvskip s20, 5                                          // 000000008A70: BF108514
	global_atomic_pk_add_bf16 v90, v75, s[8:9] offset:256      // 000000008A74: DD488100 00084B5A
	s_setvskip 0, 0                                            // 000000008A7C: BF108080
	s_setvskip s20, 6                                          // 000000008A80: BF108614
	global_atomic_pk_add_bf16 v92, v76, s[8:9]                 // 000000008A84: DD488000 00084C5C
	s_setvskip 0, 0                                            // 000000008A8C: BF108080
	s_setvskip s20, 6                                          // 000000008A90: BF108614
	global_atomic_pk_add_bf16 v92, v77, s[8:9] offset:256      // 000000008A94: DD488100 00084D5C
	s_setvskip 0, 0                                            // 000000008A9C: BF108080
	s_setvskip s20, 7                                          // 000000008AA0: BF108714
	global_atomic_pk_add_bf16 v94, v78, s[8:9]                 // 000000008AA4: DD488000 00084E5E
	s_setvskip 0, 0                                            // 000000008AAC: BF108080
	s_setvskip s20, 7                                          // 000000008AB0: BF108714
	global_atomic_pk_add_bf16 v94, v79, s[8:9] offset:256      // 000000008AB4: DD488100 00084F5E
	s_setvskip 0, 0                                            // 000000008ABC: BF108080
	s_cmp_ge_u32 s80, 0x200                                    // 000000008AC0: BF09FF50 00000200
	s_cselect_b32 s59, 0x200, s59                              // 000000008AC8: 853B3BFF 00000200
	s_add_u32 s8, s59, s8                                      // 000000008AD0: 8008083B
	s_addc_u32 s9, 0, s9                                       // 000000008AD4: 82090980
	s_addk_i32 s80, 0x100                                      // 000000008AD8: B7500100
	s_cmp_lt_i32 s80, s81                                      // 000000008ADC: BF045150
	s_cbranch_scc0 label_17FA                                  // 000000008AE0: BF840001
	s_branch label_1151                                        // 000000008AE4: BF82F957

0000000000008ae8 <label_17FA>:
	s_nop 0                                                    // 000000008AE8: BF800000
	s_nop 0                                                    // 000000008AEC: BF800000
	s_branch label_2BFB                                        // 000000008AF0: BF8213FE

0000000000008af4 <label_17FD>:
	s_waitcnt vmcnt(24) lgkmcnt(0)                             // 000000008AF4: BF8C4078
	s_barrier                                                  // 000000008AF8: BF8A0000
	v_mfma_i32_16x16x32_i8 v[128:131], a[0:1], v[192:193], 0   // 000000008AFC: D3D70080 0A038100
	buffer_load_dwordx4 a[128:131], v36, s[24:27], 0 offen     // 000000008B04: E05C1000 80868024
	v_mfma_i32_16x16x32_i8 v[128:131], a[2:3], v[194:195], v[128:131]// 000000008B0C: D3D70080 0E038502
	ds_read_b64 v[224:225], v2 offset:35072                    // 000000008B14: D8EC8900 E0000002
	ds_read_b64 v[228:229], v2 offset:43392                    // 000000008B1C: D8ECA980 E4000002
	v_mfma_i32_16x16x32_i8 v[128:131], a[4:5], v[196:197], v[128:131]// 000000008B24: D3D70080 0E038904
	buffer_load_dword v28, s[20:23], 0 offen lds               // 000000008B2C: E0511000 8005001C
	buffer_load_dword v28, s[20:23], 0 offen offset:256 lds    // 000000008B34: E0511100 8005001C
	s_add_u32 m0, 0x820, s50                                   // 000000008B3C: 807C32FF 00000820
	buffer_load_dword v14, v6, s[28:31], 0 offen               // 000000008B44: E0501000 80070E06
	v_mfma_i32_16x16x32_i8 v[128:131], a[6:7], v[198:199], v[128:131]// 000000008B4C: D3D70080 0E038D06
	ds_read_b64 v[232:233], v2 offset:35200                    // 000000008B54: D8EC8980 E8000002
	ds_read_b64 v[236:237], v2 offset:43520                    // 000000008B5C: D8ECAA00 EC000002
	v_mfma_i32_16x16x32_i8 v[128:131], a[8:9], v[200:201], v[128:131]// 000000008B64: D3D70080 0E039108
	buffer_load_dwordx4 a[132:135], v36, s[24:27], 0 offen offset:1024// 000000008B6C: E05C1400 80868424
	v_mfma_i32_16x16x32_i8 v[128:131], a[10:11], v[202:203], v[128:131]// 000000008B74: D3D70080 0E03950A
	ds_read_b64 v[240:241], v2 offset:35328                    // 000000008B7C: D8EC8A00 F0000002
	ds_read_b64 v[244:245], v2 offset:43648                    // 000000008B84: D8ECAA80 F4000002
	v_mfma_i32_16x16x32_i8 v[128:131], a[12:13], v[204:205], v[128:131]// 000000008B8C: D3D70080 0E03990C
	buffer_load_dword v29, s[20:23], 0 offen lds               // 000000008B94: E0511000 8005001D
	buffer_load_dword v29, s[20:23], 0 offen offset:256 lds    // 000000008B9C: E0511100 8005001D
	s_add_u32 m0, 0x1040, s50                                  // 000000008BA4: 807C32FF 00001040
	v_mfma_i32_16x16x32_i8 v[128:131], a[14:15], v[206:207], v[128:131]// 000000008BAC: D3D70080 0E039D0E
	ds_read_b64 v[248:249], v2 offset:35456                    // 000000008BB4: D8EC8A80 F8000002
	ds_read_b64 v[252:253], v2 offset:43776                    // 000000008BBC: D8ECAB00 FC000002
	s_waitcnt lgkmcnt(4)                                       // 000000008BC4: BF8CC47F
	v_and_b32_e32 v227, 0xffff0000, v225                       // 000000008BC8: 27C7C2FF FFFF0000
	v_lshlrev_b32_e32 v226, 16, v225                           // 000000008BD0: 25C5C290
	v_and_b32_e32 v225, 0xffff0000, v224                       // 000000008BD4: 27C3C0FF FFFF0000
	v_lshlrev_b32_e32 v224, 16, v224                           // 000000008BDC: 25C1C090
	v_and_b32_e32 v231, 0xffff0000, v229                       // 000000008BE0: 27CFCAFF FFFF0000
	v_lshlrev_b32_e32 v230, 16, v229                           // 000000008BE8: 25CDCA90
	v_and_b32_e32 v229, 0xffff0000, v228                       // 000000008BEC: 27CBC8FF FFFF0000
	v_lshlrev_b32_e32 v228, 16, v228                           // 000000008BF4: 25C9C890
	v_and_b32_e32 v235, 0xffff0000, v233                       // 000000008BF8: 27D7D2FF FFFF0000
	v_lshlrev_b32_e32 v234, 16, v233                           // 000000008C00: 25D5D290
	v_and_b32_e32 v233, 0xffff0000, v232                       // 000000008C04: 27D3D0FF FFFF0000
	v_lshlrev_b32_e32 v232, 16, v232                           // 000000008C0C: 25D1D090
	v_and_b32_e32 v239, 0xffff0000, v237                       // 000000008C10: 27DFDAFF FFFF0000
	v_lshlrev_b32_e32 v238, 16, v237                           // 000000008C18: 25DDDA90
	v_and_b32_e32 v237, 0xffff0000, v236                       // 000000008C1C: 27DBD8FF FFFF0000
	v_lshlrev_b32_e32 v236, 16, v236                           // 000000008C24: 25D9D890
	v_mul_f32_dpp v224, v15, v224 row_newbcast:0 row_mask:0xf bank_mask:0xf// 000000008C28: 0BC1C0FA FF01500F
	v_mul_f32_dpp v225, v15, v225 row_newbcast:1 row_mask:0xf bank_mask:0xf// 000000008C30: 0BC3C2FA FF01510F
	v_mul_f32_dpp v226, v15, v226 row_newbcast:2 row_mask:0xf bank_mask:0xf// 000000008C38: 0BC5C4FA FF01520F
	v_mul_f32_dpp v227, v15, v227 row_newbcast:3 row_mask:0xf bank_mask:0xf// 000000008C40: 0BC7C6FA FF01530F
	v_mul_f32_dpp v228, v15, v228 row_newbcast:0 row_mask:0xf bank_mask:0xf// 000000008C48: 0BC9C8FA FF01500F
	v_mul_f32_dpp v229, v15, v229 row_newbcast:1 row_mask:0xf bank_mask:0xf// 000000008C50: 0BCBCAFA FF01510F
	v_mul_f32_dpp v230, v15, v230 row_newbcast:2 row_mask:0xf bank_mask:0xf// 000000008C58: 0BCDCCFA FF01520F
	v_mul_f32_dpp v231, v15, v231 row_newbcast:3 row_mask:0xf bank_mask:0xf// 000000008C60: 0BCFCEFA FF01530F
	v_mul_f32_dpp v232, v15, v232 row_newbcast:4 row_mask:0xf bank_mask:0xf// 000000008C68: 0BD1D0FA FF01540F
	v_mul_f32_dpp v233, v15, v233 row_newbcast:5 row_mask:0xf bank_mask:0xf// 000000008C70: 0BD3D2FA FF01550F
	v_mul_f32_dpp v234, v15, v234 row_newbcast:6 row_mask:0xf bank_mask:0xf// 000000008C78: 0BD5D4FA FF01560F
	v_mul_f32_dpp v235, v15, v235 row_newbcast:7 row_mask:0xf bank_mask:0xf// 000000008C80: 0BD7D6FA FF01570F
	v_mul_f32_dpp v236, v15, v236 row_newbcast:4 row_mask:0xf bank_mask:0xf// 000000008C88: 0BD9D8FA FF01540F
	v_mul_f32_dpp v237, v15, v237 row_newbcast:5 row_mask:0xf bank_mask:0xf// 000000008C90: 0BDBDAFA FF01550F
	v_mul_f32_dpp v238, v15, v238 row_newbcast:6 row_mask:0xf bank_mask:0xf// 000000008C98: 0BDDDCFA FF01560F
	v_mul_f32_dpp v239, v15, v239 row_newbcast:7 row_mask:0xf bank_mask:0xf// 000000008CA0: 0BDFDEFA FF01570F
	v_mfma_i32_16x16x32_i8 v[132:135], a[0:1], v[208:209], 0   // 000000008CA8: D3D70084 0A03A100
	buffer_load_dwordx4 a[136:139], v36, s[24:27], 0 offen offset:2048// 000000008CB0: E05C1800 80868824
	v_mfma_i32_16x16x32_i8 v[132:135], a[2:3], v[210:211], v[132:135]// 000000008CB8: D3D70084 0E13A502
	v_mfma_i32_16x16x32_i8 v[132:135], a[4:5], v[212:213], v[132:135]// 000000008CC0: D3D70084 0E13A904
	buffer_load_dword v30, s[20:23], 0 offen lds               // 000000008CC8: E0511000 8005001E
	buffer_load_dword v30, s[20:23], 0 offen offset:256 lds    // 000000008CD0: E0511100 8005001E
	s_add_u32 m0, 0x1860, s50                                  // 000000008CD8: 807C32FF 00001860
	v_mfma_i32_16x16x32_i8 v[132:135], a[6:7], v[214:215], v[132:135]// 000000008CE0: D3D70084 0E13AD06
	v_mfma_i32_16x16x32_i8 v[132:135], a[8:9], v[216:217], v[132:135]// 000000008CE8: D3D70084 0E13B108
	buffer_load_dwordx4 a[140:143], v36, s[24:27], 0 offen offset:3072// 000000008CF0: E05C1C00 80868C24
	v_mfma_i32_16x16x32_i8 v[132:135], a[10:11], v[218:219], v[132:135]// 000000008CF8: D3D70084 0E13B50A
	v_mfma_i32_16x16x32_i8 v[132:135], a[12:13], v[220:221], v[132:135]// 000000008D00: D3D70084 0E13B90C
	buffer_load_dword v31, s[20:23], 0 offen lds               // 000000008D08: E0511000 8005001F
	buffer_load_dword v31, s[20:23], 0 offen offset:256 lds    // 000000008D10: E0511100 8005001F
	s_add_u32 m0, 0x2080, s50                                  // 000000008D18: 807C32FF 00002080
	v_mfma_i32_16x16x32_i8 v[132:135], a[14:15], v[222:223], v[132:135]// 000000008D20: D3D70084 0E13BD0E
	s_waitcnt lgkmcnt(0)                                       // 000000008D28: BF8CC07F
	v_and_b32_e32 v243, 0xffff0000, v241                       // 000000008D2C: 27E7E2FF FFFF0000
	v_lshlrev_b32_e32 v242, 16, v241                           // 000000008D34: 25E5E290
	v_and_b32_e32 v241, 0xffff0000, v240                       // 000000008D38: 27E3E0FF FFFF0000
	v_lshlrev_b32_e32 v240, 16, v240                           // 000000008D40: 25E1E090
	v_and_b32_e32 v247, 0xffff0000, v245                       // 000000008D44: 27EFEAFF FFFF0000
	v_lshlrev_b32_e32 v246, 16, v245                           // 000000008D4C: 25EDEA90
	v_and_b32_e32 v245, 0xffff0000, v244                       // 000000008D50: 27EBE8FF FFFF0000
	v_lshlrev_b32_e32 v244, 16, v244                           // 000000008D58: 25E9E890
	v_and_b32_e32 v251, 0xffff0000, v249                       // 000000008D5C: 27F7F2FF FFFF0000
	v_lshlrev_b32_e32 v250, 16, v249                           // 000000008D64: 25F5F290
	v_and_b32_e32 v249, 0xffff0000, v248                       // 000000008D68: 27F3F0FF FFFF0000
	v_lshlrev_b32_e32 v248, 16, v248                           // 000000008D70: 25F1F090
	v_and_b32_e32 v255, 0xffff0000, v253                       // 000000008D74: 27FFFAFF FFFF0000
	v_lshlrev_b32_e32 v254, 16, v253                           // 000000008D7C: 25FDFA90
	v_and_b32_e32 v253, 0xffff0000, v252                       // 000000008D80: 27FBF8FF FFFF0000
	v_lshlrev_b32_e32 v252, 16, v252                           // 000000008D88: 25F9F890
	v_mul_f32_dpp v240, v15, v240 row_newbcast:8 row_mask:0xf bank_mask:0xf// 000000008D8C: 0BE1E0FA FF01580F
	v_mul_f32_dpp v241, v15, v241 row_newbcast:9 row_mask:0xf bank_mask:0xf// 000000008D94: 0BE3E2FA FF01590F
	v_mul_f32_dpp v242, v15, v242 row_newbcast:10 row_mask:0xf bank_mask:0xf// 000000008D9C: 0BE5E4FA FF015A0F
	v_mul_f32_dpp v243, v15, v243 row_newbcast:11 row_mask:0xf bank_mask:0xf// 000000008DA4: 0BE7E6FA FF015B0F
	v_mul_f32_dpp v244, v15, v244 row_newbcast:8 row_mask:0xf bank_mask:0xf// 000000008DAC: 0BE9E8FA FF01580F
	v_mul_f32_dpp v245, v15, v245 row_newbcast:9 row_mask:0xf bank_mask:0xf// 000000008DB4: 0BEBEAFA FF01590F
	v_mul_f32_dpp v246, v15, v246 row_newbcast:10 row_mask:0xf bank_mask:0xf// 000000008DBC: 0BEDECFA FF015A0F
	v_mul_f32_dpp v247, v15, v247 row_newbcast:11 row_mask:0xf bank_mask:0xf// 000000008DC4: 0BEFEEFA FF015B0F
	v_mul_f32_dpp v248, v15, v248 row_newbcast:12 row_mask:0xf bank_mask:0xf// 000000008DCC: 0BF1F0FA FF015C0F
	v_mul_f32_dpp v249, v15, v249 row_newbcast:13 row_mask:0xf bank_mask:0xf// 000000008DD4: 0BF3F2FA FF015D0F
	v_mul_f32_dpp v250, v15, v250 row_newbcast:14 row_mask:0xf bank_mask:0xf// 000000008DDC: 0BF5F4FA FF015E0F
	v_mul_f32_dpp v251, v15, v251 row_newbcast:15 row_mask:0xf bank_mask:0xf// 000000008DE4: 0BF7F6FA FF015F0F
	v_mul_f32_dpp v252, v15, v252 row_newbcast:12 row_mask:0xf bank_mask:0xf// 000000008DEC: 0BF9F8FA FF015C0F
	v_mul_f32_dpp v253, v15, v253 row_newbcast:13 row_mask:0xf bank_mask:0xf// 000000008DF4: 0BFBFAFA FF015D0F
	v_mul_f32_dpp v254, v15, v254 row_newbcast:14 row_mask:0xf bank_mask:0xf// 000000008DFC: 0BFDFCFA FF015E0F
	v_mul_f32_dpp v255, v15, v255 row_newbcast:15 row_mask:0xf bank_mask:0xf// 000000008E04: 0BFFFEFA FF015F0F
	v_mfma_i32_16x16x32_i8 v[136:139], a[16:17], v[192:193], 0 // 000000008E0C: D3D70088 0A038110
	buffer_load_dwordx4 a[144:147], v37, s[24:27], 0 offen     // 000000008E14: E05C1000 80869025
	v_mfma_i32_16x16x32_i8 v[136:139], a[18:19], v[194:195], v[136:139]// 000000008E1C: D3D70088 0E238512
	v_mfma_i32_16x16x32_i8 v[136:139], a[20:21], v[196:197], v[136:139]// 000000008E24: D3D70088 0E238914
	buffer_load_dword v32, s[20:23], 0 offen lds               // 000000008E2C: E0511000 80050020
	buffer_load_dword v32, s[20:23], 0 offen offset:256 lds    // 000000008E34: E0511100 80050020
	s_add_u32 m0, 0x28a0, s50                                  // 000000008E3C: 807C32FF 000028A0
	v_mfma_i32_16x16x32_i8 v[136:139], a[22:23], v[198:199], v[136:139]// 000000008E44: D3D70088 0E238D16
	v_mfma_i32_16x16x32_i8 v[136:139], a[24:25], v[200:201], v[136:139]// 000000008E4C: D3D70088 0E239118
	buffer_load_dwordx4 a[148:151], v37, s[24:27], 0 offen offset:1024// 000000008E54: E05C1400 80869425
	v_mfma_i32_16x16x32_i8 v[136:139], a[26:27], v[202:203], v[136:139]// 000000008E5C: D3D70088 0E23951A
	v_mfma_i32_16x16x32_i8 v[136:139], a[28:29], v[204:205], v[136:139]// 000000008E64: D3D70088 0E23991C
	buffer_load_dword v33, s[20:23], 0 offen lds               // 000000008E6C: E0511000 80050021
	buffer_load_dword v33, s[20:23], 0 offen offset:256 lds    // 000000008E74: E0511100 80050021
	s_add_u32 m0, 0x30c0, s50                                  // 000000008E7C: 807C32FF 000030C0
	v_mfma_i32_16x16x32_i8 v[136:139], a[30:31], v[206:207], v[136:139]// 000000008E84: D3D70088 0E239D1E
	v_mov_b32_e32 v48, 0x358637bd                              // 000000008E8C: 7E6002FF 358637BD
	v_mov_b32_e32 v49, 0x358637bd                              // 000000008E94: 7E6202FF 358637BD
	v_max3_f32 v48, |v224|, |v225|, v48                        // 000000008E9C: D1D30330 04C3C3E0
	v_max3_f32 v48, |v226|, |v227|, v48                        // 000000008EA4: D1D30330 04C3C7E2
	v_max3_f32 v49, |v228|, |v229|, v49                        // 000000008EAC: D1D30331 04C7CBE4
	v_max3_f32 v49, |v230|, |v231|, v49                        // 000000008EB4: D1D30331 04C7CFE6
	v_max3_f32 v48, |v232|, |v233|, v48                        // 000000008EBC: D1D30330 04C3D3E8
	v_max3_f32 v48, |v234|, |v235|, v48                        // 000000008EC4: D1D30330 04C3D7EA
	v_max3_f32 v49, |v236|, |v237|, v49                        // 000000008ECC: D1D30331 04C7DBEC
	v_max3_f32 v49, |v238|, |v239|, v49                        // 000000008ED4: D1D30331 04C7DFEE
	v_max3_f32 v48, |v240|, |v241|, v48                        // 000000008EDC: D1D30330 04C3E3F0
	v_max3_f32 v48, |v242|, |v243|, v48                        // 000000008EE4: D1D30330 04C3E7F2
	v_max3_f32 v49, |v244|, |v245|, v49                        // 000000008EEC: D1D30331 04C7EBF4
	v_max3_f32 v49, |v246|, |v247|, v49                        // 000000008EF4: D1D30331 04C7EFF6
	v_max3_f32 v48, |v248|, |v249|, v48                        // 000000008EFC: D1D30330 04C3F3F8
	v_max3_f32 v48, |v250|, |v251|, v48                        // 000000008F04: D1D30330 04C3F7FA
	v_max3_f32 v49, |v252|, |v253|, v49                        // 000000008F0C: D1D30331 04C7FBFC
	v_max3_f32 v49, |v254|, |v255|, v49                        // 000000008F14: D1D30331 04C7FFFE
	v_mfma_i32_16x16x32_i8 v[140:143], a[16:17], v[208:209], 0 // 000000008F1C: D3D7008C 0A03A110
	buffer_load_dwordx4 a[152:155], v37, s[24:27], 0 offen offset:2048// 000000008F24: E05C1800 80869825
	v_mfma_i32_16x16x32_i8 v[140:143], a[18:19], v[210:211], v[140:143]// 000000008F2C: D3D7008C 0E33A512
	ds_write_b64 v3, v[48:49]                                  // 000000008F34: D89A0000 00003003
	v_mfma_i32_16x16x32_i8 v[140:143], a[20:21], v[212:213], v[140:143]// 000000008F3C: D3D7008C 0E33A914
	buffer_load_dword v34, s[20:23], 0 offen lds               // 000000008F44: E0511000 80050022
	buffer_load_dword v34, s[20:23], 0 offen offset:256 lds    // 000000008F4C: E0511100 80050022
	s_add_u32 m0, 0x38e0, s50                                  // 000000008F54: 807C32FF 000038E0
	v_mfma_i32_16x16x32_i8 v[140:143], a[22:23], v[214:215], v[140:143]// 000000008F5C: D3D7008C 0E33AD16
	v_mfma_i32_16x16x32_i8 v[140:143], a[24:25], v[216:217], v[140:143]// 000000008F64: D3D7008C 0E33B118
	buffer_load_dwordx4 a[156:159], v37, s[24:27], 0 offen offset:3072// 000000008F6C: E05C1C00 80869C25
	v_mfma_i32_16x16x32_i8 v[140:143], a[26:27], v[218:219], v[140:143]// 000000008F74: D3D7008C 0E33B51A
	v_mfma_i32_16x16x32_i8 v[140:143], a[28:29], v[220:221], v[140:143]// 000000008F7C: D3D7008C 0E33B91C
	buffer_load_dword v35, s[20:23], 0 offen lds               // 000000008F84: E0511000 80050023
	buffer_load_dword v35, s[20:23], 0 offen offset:256 lds    // 000000008F8C: E0511100 80050023
	s_add_u32 m0, 0, s51                                       // 000000008F94: 807C3380
	v_mfma_i32_16x16x32_i8 v[140:143], a[30:31], v[222:223], v[140:143]// 000000008F98: D3D7008C 0E33BD1E
	s_waitcnt lgkmcnt(0)                                       // 000000008FA0: BF8CC07F
	s_barrier                                                  // 000000008FA4: BF8A0000
	v_cvt_f32_i32_e32 v128, v128                               // 000000008FA8: 7F000B80
	v_cvt_f32_i32_e32 v129, v129                               // 000000008FAC: 7F020B81
	v_cvt_f32_i32_e32 v130, v130                               // 000000008FB0: 7F040B82
	v_cvt_f32_i32_e32 v131, v131                               // 000000008FB4: 7F060B83
	v_cvt_f32_i32_e32 v132, v132                               // 000000008FB8: 7F080B84
	v_cvt_f32_i32_e32 v133, v133                               // 000000008FBC: 7F0A0B85
	v_cvt_f32_i32_e32 v134, v134                               // 000000008FC0: 7F0C0B86
	v_cvt_f32_i32_e32 v135, v135                               // 000000008FC4: 7F0E0B87
	v_cvt_f32_i32_e32 v136, v136                               // 000000008FC8: 7F100B88
	v_cvt_f32_i32_e32 v137, v137                               // 000000008FCC: 7F120B89
	v_cvt_f32_i32_e32 v138, v138                               // 000000008FD0: 7F140B8A
	v_cvt_f32_i32_e32 v139, v139                               // 000000008FD4: 7F160B8B
	v_cvt_f32_i32_e32 v140, v140                               // 000000008FD8: 7F180B8C
	v_cvt_f32_i32_e32 v141, v141                               // 000000008FDC: 7F1A0B8D
	v_cvt_f32_i32_e32 v142, v142                               // 000000008FE0: 7F1C0B8E
	v_cvt_f32_i32_e32 v143, v143                               // 000000008FE4: 7F1E0B8F
	s_waitcnt vmcnt(40)                                        // 000000008FE8: BF8C8F78
	v_mfma_i32_16x16x32_i8 v[144:147], a[32:33], v[192:193], 0 // 000000008FEC: D3D70090 0A038120
	buffer_load_dwordx4 a[160:163], v38, s[24:27], 0 offen     // 000000008FF4: E05C1000 8086A026
	v_mfma_i32_16x16x32_i8 v[144:147], a[34:35], v[194:195], v[144:147]// 000000008FFC: D3D70090 0E438522
	ds_read_b64 v[48:49], v4                                   // 000000009004: D8EC0000 30000004
	ds_read_b64 v[50:51], v4 offset:128                        // 00000000900C: D8EC0080 32000004
	v_mfma_i32_16x16x32_i8 v[144:147], a[36:37], v[196:197], v[144:147]// 000000009014: D3D70090 0E438924
	v_mfma_i32_16x16x32_i8 v[144:147], a[38:39], v[198:199], v[144:147]// 00000000901C: D3D70090 0E438D26
	ds_read_b64 v[52:53], v4 offset:256                        // 000000009024: D8EC0100 34000004
	ds_read_b64 v[54:55], v4 offset:384                        // 00000000902C: D8EC0180 36000004
	v_mfma_i32_16x16x32_i8 v[144:147], a[40:41], v[200:201], v[144:147]// 000000009034: D3D70090 0E439128
	buffer_load_dwordx4 a[164:167], v38, s[24:27], 0 offen offset:1024// 00000000903C: E05C1400 8086A426
	v_mfma_i32_16x16x32_i8 v[144:147], a[42:43], v[202:203], v[144:147]// 000000009044: D3D70090 0E43952A
	ds_read_b64 v[56:57], v4 offset:512                        // 00000000904C: D8EC0200 38000004
	ds_read_b64 v[58:59], v4 offset:640                        // 000000009054: D8EC0280 3A000004
	v_mfma_i32_16x16x32_i8 v[144:147], a[44:45], v[204:205], v[144:147]// 00000000905C: D3D70090 0E43992C
	v_mfma_i32_16x16x32_i8 v[144:147], a[46:47], v[206:207], v[144:147]// 000000009064: D3D70090 0E439D2E
	ds_read_b64 v[60:61], v4 offset:768                        // 00000000906C: D8EC0300 3C000004
	ds_read_b64 v[62:63], v4 offset:896                        // 000000009074: D8EC0380 3E000004
	v_mov_b32_e32 v8, v25                                      // 00000000907C: 7E100319
	v_mov_b32_e32 v9, v25                                      // 000000009080: 7E120319
	v_mov_b32_e32 v25, v24                                     // 000000009084: 7E320318
	v_pk_fma_f32 v[64:65], v[24:25], v[128:129], v[64:65]      // 000000009088: D3B04040 1D030118
	v_pk_fma_f32 v[66:67], v[24:25], v[130:131], v[66:67]      // 000000009090: D3B04042 1D0B0518
	v_pk_fma_f32 v[68:69], v[8:9], v[132:133], v[68:69]        // 000000009098: D3B04044 1D130908
	v_pk_fma_f32 v[70:71], v[8:9], v[134:135], v[70:71]        // 0000000090A0: D3B04046 1D1B0D08
	v_pk_fma_f32 v[72:73], v[24:25], v[136:137], v[72:73]      // 0000000090A8: D3B04048 1D231118
	v_pk_fma_f32 v[74:75], v[24:25], v[138:139], v[74:75]      // 0000000090B0: D3B0404A 1D2B1518
	v_pk_fma_f32 v[76:77], v[8:9], v[140:141], v[76:77]        // 0000000090B8: D3B0404C 1D331908
	v_pk_fma_f32 v[78:79], v[8:9], v[142:143], v[78:79]        // 0000000090C0: D3B0404E 1D3B1D08
	s_waitcnt lgkmcnt(0)                                       // 0000000090C8: BF8CC07F
	v_mov_b32_e32 v22, 0x358637bd                              // 0000000090CC: 7E2C02FF 358637BD
	v_mov_b32_e32 v23, 0x358637bd                              // 0000000090D4: 7E2E02FF 358637BD
	v_max3_f32 v22, |v48|, |v50|, v22                          // 0000000090DC: D1D30316 045A6530
	v_max3_f32 v23, |v49|, |v51|, v23                          // 0000000090E4: D1D30317 045E6731
	v_max3_f32 v22, |v52|, |v54|, v22                          // 0000000090EC: D1D30316 045A6D34
	v_max3_f32 v23, |v53|, |v55|, v23                          // 0000000090F4: D1D30317 045E6F35
	v_max3_f32 v22, |v56|, |v58|, v22                          // 0000000090FC: D1D30316 045A7538
	v_max3_f32 v23, |v57|, |v59|, v23                          // 000000009104: D1D30317 045E7739
	v_max3_f32 v22, |v60|, |v62|, v22                          // 00000000910C: D1D30316 045A7D3C
	v_max3_f32 v23, |v61|, |v63|, v23                          // 000000009114: D1D30317 045E7F3D
	v_mfma_i32_16x16x32_i8 v[148:151], a[32:33], v[208:209], 0 // 00000000911C: D3D70094 0A03A120
	buffer_load_dwordx4 a[168:171], v38, s[24:27], 0 offen offset:2048// 000000009124: E05C1800 8086A826
	v_mfma_i32_16x16x32_i8 v[148:151], a[34:35], v[210:211], v[148:151]// 00000000912C: D3D70094 0E53A522
	ds_read_b64 v[48:49], v4 offset:1024                       // 000000009134: D8EC0400 30000004
	ds_read_b64 v[50:51], v4 offset:1152                       // 00000000913C: D8EC0480 32000004
	v_mfma_i32_16x16x32_i8 v[148:151], a[36:37], v[212:213], v[148:151]// 000000009144: D3D70094 0E53A924
	v_mfma_i32_16x16x32_i8 v[148:151], a[38:39], v[214:215], v[148:151]// 00000000914C: D3D70094 0E53AD26
	ds_read_b64 v[52:53], v4 offset:1280                       // 000000009154: D8EC0500 34000004
	ds_read_b64 v[54:55], v4 offset:1408                       // 00000000915C: D8EC0580 36000004
	v_mfma_i32_16x16x32_i8 v[148:151], a[40:41], v[216:217], v[148:151]// 000000009164: D3D70094 0E53B128
	buffer_load_dwordx4 a[172:175], v38, s[24:27], 0 offen offset:3072// 00000000916C: E05C1C00 8086AC26
	v_mfma_i32_16x16x32_i8 v[148:151], a[42:43], v[218:219], v[148:151]// 000000009174: D3D70094 0E53B52A
	ds_read_b64 v[56:57], v4 offset:1536                       // 00000000917C: D8EC0600 38000004
	ds_read_b64 v[58:59], v4 offset:1664                       // 000000009184: D8EC0680 3A000004
	v_mfma_i32_16x16x32_i8 v[148:151], a[44:45], v[220:221], v[148:151]// 00000000918C: D3D70094 0E53B92C
	v_mfma_i32_16x16x32_i8 v[148:151], a[46:47], v[222:223], v[148:151]// 000000009194: D3D70094 0E53BD2E
	ds_read_b64 v[60:61], v4 offset:1792                       // 00000000919C: D8EC0700 3C000004
	ds_read_b64 v[62:63], v4 offset:1920                       // 0000000091A4: D8EC0780 3E000004
	v_mfma_i32_16x16x32_i8 v[152:155], a[48:49], v[192:193], 0 // 0000000091AC: D3D70098 0A038130
	buffer_load_dwordx4 a[176:179], v39, s[24:27], 0 offen     // 0000000091B4: E05C1000 8086B027
	v_mfma_i32_16x16x32_i8 v[152:155], a[50:51], v[194:195], v[152:155]// 0000000091BC: D3D70098 0E638532
	v_mfma_i32_16x16x32_i8 v[152:155], a[52:53], v[196:197], v[152:155]// 0000000091C4: D3D70098 0E638934
	v_mfma_i32_16x16x32_i8 v[152:155], a[54:55], v[198:199], v[152:155]// 0000000091CC: D3D70098 0E638D36
	v_mfma_i32_16x16x32_i8 v[152:155], a[56:57], v[200:201], v[152:155]// 0000000091D4: D3D70098 0E639138
	buffer_load_dwordx4 a[180:183], v39, s[24:27], 0 offen offset:1024// 0000000091DC: E05C1400 8086B427
	v_mfma_i32_16x16x32_i8 v[152:155], a[58:59], v[202:203], v[152:155]// 0000000091E4: D3D70098 0E63953A
	v_mfma_i32_16x16x32_i8 v[152:155], a[60:61], v[204:205], v[152:155]// 0000000091EC: D3D70098 0E63993C
	v_mfma_i32_16x16x32_i8 v[152:155], a[62:63], v[206:207], v[152:155]// 0000000091F4: D3D70098 0E639D3E
	s_waitcnt lgkmcnt(0)                                       // 0000000091FC: BF8CC07F
	v_max3_f32 v22, |v48|, |v50|, v22                          // 000000009200: D1D30316 045A6530
	v_max3_f32 v23, |v49|, |v51|, v23                          // 000000009208: D1D30317 045E6731
	v_max3_f32 v22, |v52|, |v54|, v22                          // 000000009210: D1D30316 045A6D34
	v_max3_f32 v23, |v53|, |v55|, v23                          // 000000009218: D1D30317 045E6F35
	v_max3_f32 v22, |v56|, |v58|, v22                          // 000000009220: D1D30316 045A7538
	v_max3_f32 v23, |v57|, |v59|, v23                          // 000000009228: D1D30317 045E7739
	v_max3_f32 v22, |v60|, |v62|, v22                          // 000000009230: D1D30316 045A7D3C
	v_max3_f32 v23, |v61|, |v63|, v23                          // 000000009238: D1D30317 045E7F3D
	v_rcp_f32_e32 v22, v22                                     // 000000009240: 7E2C4516
	v_rcp_f32_e32 v23, v23                                     // 000000009244: 7E2E4517
	s_nop 1                                                    // 000000009248: BF800001
	v_mul_f32_e32 v22, 0x42fe0000, v22                         // 00000000924C: 0A2C2CFF 42FE0000
	v_mul_f32_e32 v23, 0x42fe0000, v23                         // 000000009254: 0A2E2EFF 42FE0000
	v_rcp_f32_e32 v26, v22                                     // 00000000925C: 7E344516
	v_rcp_f32_e32 v27, v23                                     // 000000009260: 7E364517
	v_mfma_i32_16x16x32_i8 v[156:159], a[48:49], v[208:209], 0 // 000000009264: D3D7009C 0A03A130
	buffer_load_dwordx4 a[184:187], v39, s[24:27], 0 offen offset:2048// 00000000926C: E05C1800 8086B827
	v_mfma_i32_16x16x32_i8 v[156:159], a[50:51], v[210:211], v[156:159]// 000000009274: D3D7009C 0E73A532
	v_mfma_i32_16x16x32_i8 v[156:159], a[52:53], v[212:213], v[156:159]// 00000000927C: D3D7009C 0E73A934
	v_mfma_i32_16x16x32_i8 v[156:159], a[54:55], v[214:215], v[156:159]// 000000009284: D3D7009C 0E73AD36
	v_mfma_i32_16x16x32_i8 v[156:159], a[56:57], v[216:217], v[156:159]// 00000000928C: D3D7009C 0E73B138
	buffer_load_dwordx4 a[188:191], v39, s[24:27], 0 offen offset:3072// 000000009294: E05C1C00 8086BC27
	v_mfma_i32_16x16x32_i8 v[156:159], a[58:59], v[218:219], v[156:159]// 00000000929C: D3D7009C 0E73B53A
	v_mfma_i32_16x16x32_i8 v[156:159], a[60:61], v[220:221], v[156:159]// 0000000092A4: D3D7009C 0E73B93C
	v_mfma_i32_16x16x32_i8 v[156:159], a[62:63], v[222:223], v[156:159]// 0000000092AC: D3D7009C 0E73BD3E
	v_mul_f32_e32 v224, v22, v224                              // 0000000092B4: 0BC1C116
	v_mul_f32_e32 v225, v22, v225                              // 0000000092B8: 0BC3C316
	v_mul_f32_e32 v226, v22, v226                              // 0000000092BC: 0BC5C516
	v_mul_f32_e32 v227, v22, v227                              // 0000000092C0: 0BC7C716
	v_cvt_i32_f32_e32 v224, v224                               // 0000000092C4: 7FC011E0
	v_cvt_i32_f32_e32 v225, v225                               // 0000000092C8: 7FC211E1
	v_cvt_i32_f32_e32 v226, v226                               // 0000000092CC: 7FC411E2
	v_cvt_i32_f32_e32 v227, v227                               // 0000000092D0: 7FC611E3
	v_perm_b32 v224, v225, v224, s53                           // 0000000092D4: D1ED00E0 00D7C1E1
	v_perm_b32 v224, v226, v224, s54                           // 0000000092DC: D1ED00E0 00DBC1E2
	v_perm_b32 v224, v227, v224, s55                           // 0000000092E4: D1ED00E0 00DFC1E3
	v_mul_f32_e32 v228, v23, v228                              // 0000000092EC: 0BC9C917
	v_mul_f32_e32 v229, v23, v229                              // 0000000092F0: 0BCBCB17
	v_mul_f32_e32 v230, v23, v230                              // 0000000092F4: 0BCDCD17
	v_mul_f32_e32 v231, v23, v231                              // 0000000092F8: 0BCFCF17
	v_cvt_i32_f32_e32 v228, v228                               // 0000000092FC: 7FC811E4
	v_cvt_i32_f32_e32 v229, v229                               // 000000009300: 7FCA11E5
	v_cvt_i32_f32_e32 v230, v230                               // 000000009304: 7FCC11E6
	v_cvt_i32_f32_e32 v231, v231                               // 000000009308: 7FCE11E7
	v_perm_b32 v225, v229, v228, s53                           // 00000000930C: D1ED00E1 00D7C9E5
	v_perm_b32 v225, v230, v225, s54                           // 000000009314: D1ED00E1 00DBC3E6
	v_perm_b32 v225, v231, v225, s55                           // 00000000931C: D1ED00E1 00DFC3E7
	s_waitcnt vmcnt(40)                                        // 000000009324: BF8C8F78
	v_mfma_i32_16x16x32_i8 v[160:163], a[64:65], v[192:193], 0 // 000000009328: D3D700A0 0A038140
	buffer_load_dwordx4 a[192:195], v40, s[24:27], 0 offen     // 000000009330: E05C1000 8086C028
	v_mfma_i32_16x16x32_i8 v[160:163], a[66:67], v[194:195], v[160:163]// 000000009338: D3D700A0 0E838542
	v_mfma_i32_16x16x32_i8 v[160:163], a[68:69], v[196:197], v[160:163]// 000000009340: D3D700A0 0E838944
	s_add_u32 s60, 0x300, s80                                  // 000000009348: 803C50FF 00000300
	s_cmp_lt_u32 s60, s81                                      // 000000009350: BF0A513C
	s_cselect_b32 s57, s57, 0                                  // 000000009354: 85398039
	s_cselect_b32 s84, s84, 0                                  // 000000009358: 85548054
	v_mfma_i32_16x16x32_i8 v[160:163], a[70:71], v[198:199], v[160:163]// 00000000935C: D3D700A0 0E838D46
	v_mfma_i32_16x16x32_i8 v[160:163], a[72:73], v[200:201], v[160:163]// 000000009364: D3D700A0 0E839148
	buffer_load_dwordx4 a[196:199], v40, s[24:27], 0 offen offset:1024// 00000000936C: E05C1400 8086C428
	v_mfma_i32_16x16x32_i8 v[160:163], a[74:75], v[202:203], v[160:163]// 000000009374: D3D700A0 0E83954A
	v_mfma_i32_16x16x32_i8 v[160:163], a[76:77], v[204:205], v[160:163]// 00000000937C: D3D700A0 0E83994C
	s_add_u32 s60, 0x200, s80                                  // 000000009384: 803C50FF 00000200
	s_cmp_lt_u32 s60, s81                                      // 00000000938C: BF0A513C
	s_cselect_b32 s58, s58, 0                                  // 000000009390: 853A803A
	v_mfma_i32_16x16x32_i8 v[160:163], a[78:79], v[206:207], v[160:163]// 000000009394: D3D700A0 0E839D4E
	v_mul_f32_e32 v232, v22, v232                              // 00000000939C: 0BD1D116
	v_mul_f32_e32 v233, v22, v233                              // 0000000093A0: 0BD3D316
	v_mul_f32_e32 v234, v22, v234                              // 0000000093A4: 0BD5D516
	v_mul_f32_e32 v235, v22, v235                              // 0000000093A8: 0BD7D716
	v_cvt_i32_f32_e32 v232, v232                               // 0000000093AC: 7FD011E8
	v_cvt_i32_f32_e32 v233, v233                               // 0000000093B0: 7FD211E9
	v_cvt_i32_f32_e32 v234, v234                               // 0000000093B4: 7FD411EA
	v_cvt_i32_f32_e32 v235, v235                               // 0000000093B8: 7FD611EB
	v_perm_b32 v226, v233, v232, s53                           // 0000000093BC: D1ED00E2 00D7D1E9
	v_perm_b32 v226, v234, v226, s54                           // 0000000093C4: D1ED00E2 00DBC5EA
	v_perm_b32 v226, v235, v226, s55                           // 0000000093CC: D1ED00E2 00DFC5EB
	v_mul_f32_e32 v236, v23, v236                              // 0000000093D4: 0BD9D917
	v_mul_f32_e32 v237, v23, v237                              // 0000000093D8: 0BDBDB17
	v_mul_f32_e32 v238, v23, v238                              // 0000000093DC: 0BDDDD17
	v_mul_f32_e32 v239, v23, v239                              // 0000000093E0: 0BDFDF17
	v_cvt_i32_f32_e32 v236, v236                               // 0000000093E4: 7FD811EC
	v_cvt_i32_f32_e32 v237, v237                               // 0000000093E8: 7FDA11ED
	v_cvt_i32_f32_e32 v238, v238                               // 0000000093EC: 7FDC11EE
	v_cvt_i32_f32_e32 v239, v239                               // 0000000093F0: 7FDE11EF
	v_perm_b32 v227, v237, v236, s53                           // 0000000093F4: D1ED00E3 00D7D9ED
	v_perm_b32 v227, v238, v227, s54                           // 0000000093FC: D1ED00E3 00DBC7EE
	v_perm_b32 v227, v239, v227, s55                           // 000000009404: D1ED00E3 00DFC7EF
	v_mfma_i32_16x16x32_i8 v[164:167], a[64:65], v[208:209], 0 // 00000000940C: D3D700A4 0A03A140
	buffer_load_dwordx4 a[200:203], v40, s[24:27], 0 offen offset:2048// 000000009414: E05C1800 8086C828
	v_mfma_i32_16x16x32_i8 v[164:167], a[66:67], v[210:211], v[164:167]// 00000000941C: D3D700A4 0E93A542
	ds_write_b32 v12, v224 offset:2048                         // 000000009424: D81A0800 0000E00C
	v_mfma_i32_16x16x32_i8 v[164:167], a[68:69], v[212:213], v[164:167]// 00000000942C: D3D700A4 0E93A944
	s_add_u32 s20, s57, s20                                    // 000000009434: 80141439
	s_addc_u32 s21, 0, s21                                     // 000000009438: 82151580
	v_mfma_i32_16x16x32_i8 v[164:167], a[70:71], v[214:215], v[164:167]// 00000000943C: D3D700A4 0E93AD46
	ds_write_b32 v12, v225 offset:6144                         // 000000009444: D81A1800 0000E10C
	v_mfma_i32_16x16x32_i8 v[164:167], a[72:73], v[216:217], v[164:167]// 00000000944C: D3D700A4 0E93B148
	buffer_load_dwordx4 a[204:207], v40, s[24:27], 0 offen offset:3072// 000000009454: E05C1C00 8086CC28
	v_mfma_i32_16x16x32_i8 v[164:167], a[74:75], v[218:219], v[164:167]// 00000000945C: D3D700A4 0E93B54A
	ds_write_b32 v12, v226 offset:3072                         // 000000009464: D81A0C00 0000E20C
	v_mfma_i32_16x16x32_i8 v[164:167], a[76:77], v[220:221], v[164:167]// 00000000946C: D3D700A4 0E93B94C
	v_mfma_i32_16x16x32_i8 v[164:167], a[78:79], v[222:223], v[164:167]// 000000009474: D3D700A4 0E93BD4E
	ds_write_b32 v12, v227 offset:7168                         // 00000000947C: D81A1C00 0000E30C
	v_mul_f32_e32 v240, v22, v240                              // 000000009484: 0BE1E116
	v_mul_f32_e32 v241, v22, v241                              // 000000009488: 0BE3E316
	v_mul_f32_e32 v242, v22, v242                              // 00000000948C: 0BE5E516
	v_mul_f32_e32 v243, v22, v243                              // 000000009490: 0BE7E716
	v_cvt_i32_f32_e32 v240, v240                               // 000000009494: 7FE011F0
	v_cvt_i32_f32_e32 v241, v241                               // 000000009498: 7FE211F1
	v_cvt_i32_f32_e32 v242, v242                               // 00000000949C: 7FE411F2
	v_cvt_i32_f32_e32 v243, v243                               // 0000000094A0: 7FE611F3
	v_perm_b32 v228, v241, v240, s53                           // 0000000094A4: D1ED00E4 00D7E1F1
	v_perm_b32 v228, v242, v228, s54                           // 0000000094AC: D1ED00E4 00DBC9F2
	v_perm_b32 v228, v243, v228, s55                           // 0000000094B4: D1ED00E4 00DFC9F3
	v_mul_f32_e32 v244, v23, v244                              // 0000000094BC: 0BE9E917
	v_mul_f32_e32 v245, v23, v245                              // 0000000094C0: 0BEBEB17
	v_mul_f32_e32 v246, v23, v246                              // 0000000094C4: 0BEDED17
	v_mul_f32_e32 v247, v23, v247                              // 0000000094C8: 0BEFEF17
	v_cvt_i32_f32_e32 v244, v244                               // 0000000094CC: 7FE811F4
	v_cvt_i32_f32_e32 v245, v245                               // 0000000094D0: 7FEA11F5
	v_cvt_i32_f32_e32 v246, v246                               // 0000000094D4: 7FEC11F6
	v_cvt_i32_f32_e32 v247, v247                               // 0000000094D8: 7FEE11F7
	v_perm_b32 v229, v245, v244, s53                           // 0000000094DC: D1ED00E5 00D7E9F5
	v_perm_b32 v229, v246, v229, s54                           // 0000000094E4: D1ED00E5 00DBCBF6
	v_perm_b32 v229, v247, v229, s55                           // 0000000094EC: D1ED00E5 00DFCBF7
	v_mfma_i32_16x16x32_i8 v[168:171], a[80:81], v[192:193], 0 // 0000000094F4: D3D700A8 0A038150
	buffer_load_dwordx4 a[208:211], v41, s[24:27], 0 offen     // 0000000094FC: E05C1000 8086D029
	v_mfma_i32_16x16x32_i8 v[168:171], a[82:83], v[194:195], v[168:171]// 000000009504: D3D700A8 0EA38552
	v_mfma_i32_16x16x32_i8 v[168:171], a[84:85], v[196:197], v[168:171]// 00000000950C: D3D700A8 0EA38954
	v_mfma_i32_16x16x32_i8 v[168:171], a[86:87], v[198:199], v[168:171]// 000000009514: D3D700A8 0EA38D56
	v_mfma_i32_16x16x32_i8 v[168:171], a[88:89], v[200:201], v[168:171]// 00000000951C: D3D700A8 0EA39158
	buffer_load_dwordx4 a[212:215], v41, s[24:27], 0 offen offset:1024// 000000009524: E05C1400 8086D429
	v_mfma_i32_16x16x32_i8 v[168:171], a[90:91], v[202:203], v[168:171]// 00000000952C: D3D700A8 0EA3955A
	v_mfma_i32_16x16x32_i8 v[168:171], a[92:93], v[204:205], v[168:171]// 000000009534: D3D700A8 0EA3995C
	v_mfma_i32_16x16x32_i8 v[168:171], a[94:95], v[206:207], v[168:171]// 00000000953C: D3D700A8 0EA39D5E
	v_mul_f32_e32 v248, v22, v248                              // 000000009544: 0BF1F116
	v_mul_f32_e32 v249, v22, v249                              // 000000009548: 0BF3F316
	v_mul_f32_e32 v250, v22, v250                              // 00000000954C: 0BF5F516
	v_mul_f32_e32 v251, v22, v251                              // 000000009550: 0BF7F716
	v_cvt_i32_f32_e32 v248, v248                               // 000000009554: 7FF011F8
	v_cvt_i32_f32_e32 v249, v249                               // 000000009558: 7FF211F9
	v_cvt_i32_f32_e32 v250, v250                               // 00000000955C: 7FF411FA
	v_cvt_i32_f32_e32 v251, v251                               // 000000009560: 7FF611FB
	v_perm_b32 v230, v249, v248, s53                           // 000000009564: D1ED00E6 00D7F1F9
	v_perm_b32 v230, v250, v230, s54                           // 00000000956C: D1ED00E6 00DBCDFA
	v_perm_b32 v230, v251, v230, s55                           // 000000009574: D1ED00E6 00DFCDFB
	v_mul_f32_e32 v252, v23, v252                              // 00000000957C: 0BF9F917
	v_mul_f32_e32 v253, v23, v253                              // 000000009580: 0BFBFB17
	v_mul_f32_e32 v254, v23, v254                              // 000000009584: 0BFDFD17
	v_mul_f32_e32 v255, v23, v255                              // 000000009588: 0BFFFF17
	v_cvt_i32_f32_e32 v252, v252                               // 00000000958C: 7FF811FC
	v_cvt_i32_f32_e32 v253, v253                               // 000000009590: 7FFA11FD
	v_cvt_i32_f32_e32 v254, v254                               // 000000009594: 7FFC11FE
	v_cvt_i32_f32_e32 v255, v255                               // 000000009598: 7FFE11FF
	v_perm_b32 v231, v253, v252, s53                           // 00000000959C: D1ED00E7 00D7F9FD
	v_perm_b32 v231, v254, v231, s54                           // 0000000095A4: D1ED00E7 00DBCFFE
	v_perm_b32 v231, v255, v231, s55                           // 0000000095AC: D1ED00E7 00DFCFFF
	v_mfma_i32_16x16x32_i8 v[172:175], a[80:81], v[208:209], 0 // 0000000095B4: D3D700AC 0A03A150
	buffer_load_dwordx4 a[216:219], v41, s[24:27], 0 offen offset:2048// 0000000095BC: E05C1800 8086D829
	v_mfma_i32_16x16x32_i8 v[172:175], a[82:83], v[210:211], v[172:175]// 0000000095C4: D3D700AC 0EB3A552
	ds_write_b32 v12, v228 offset:4096                         // 0000000095CC: D81A1000 0000E40C
	v_mfma_i32_16x16x32_i8 v[172:175], a[84:85], v[212:213], v[172:175]// 0000000095D4: D3D700AC 0EB3A954
	v_mfma_i32_16x16x32_i8 v[172:175], a[86:87], v[214:215], v[172:175]// 0000000095DC: D3D700AC 0EB3AD56
	ds_write_b32 v12, v229 offset:8192                         // 0000000095E4: D81A2000 0000E50C
	v_mfma_i32_16x16x32_i8 v[172:175], a[88:89], v[216:217], v[172:175]// 0000000095EC: D3D700AC 0EB3B158
	buffer_load_dwordx4 a[220:223], v41, s[24:27], 0 offen offset:3072// 0000000095F4: E05C1C00 8086DC29
	v_mfma_i32_16x16x32_i8 v[172:175], a[90:91], v[218:219], v[172:175]// 0000000095FC: D3D700AC 0EB3B55A
	ds_write_b32 v12, v230 offset:5120                         // 000000009604: D81A1400 0000E60C
	v_mfma_i32_16x16x32_i8 v[172:175], a[92:93], v[220:221], v[172:175]// 00000000960C: D3D700AC 0EB3B95C
	v_mfma_i32_16x16x32_i8 v[172:175], a[94:95], v[222:223], v[172:175]// 000000009614: D3D700AC 0EB3BD5E
	ds_write_b32 v12, v231 offset:9216                         // 00000000961C: D81A2400 0000E70C
	v_cvt_f32_i32_e32 v144, v144                               // 000000009624: 7F200B90
	v_cvt_f32_i32_e32 v145, v145                               // 000000009628: 7F220B91
	v_cvt_f32_i32_e32 v146, v146                               // 00000000962C: 7F240B92
	v_cvt_f32_i32_e32 v147, v147                               // 000000009630: 7F260B93
	v_cvt_f32_i32_e32 v148, v148                               // 000000009634: 7F280B94
	v_cvt_f32_i32_e32 v149, v149                               // 000000009638: 7F2A0B95
	v_cvt_f32_i32_e32 v150, v150                               // 00000000963C: 7F2C0B96
	v_cvt_f32_i32_e32 v151, v151                               // 000000009640: 7F2E0B97
	v_cvt_f32_i32_e32 v152, v152                               // 000000009644: 7F300B98
	v_cvt_f32_i32_e32 v153, v153                               // 000000009648: 7F320B99
	v_cvt_f32_i32_e32 v154, v154                               // 00000000964C: 7F340B9A
	v_cvt_f32_i32_e32 v155, v155                               // 000000009650: 7F360B9B
	v_cvt_f32_i32_e32 v156, v156                               // 000000009654: 7F380B9C
	v_cvt_f32_i32_e32 v157, v157                               // 000000009658: 7F3A0B9D
	v_cvt_f32_i32_e32 v158, v158                               // 00000000965C: 7F3C0B9E
	v_cvt_f32_i32_e32 v159, v159                               // 000000009660: 7F3E0B9F
	s_waitcnt lgkmcnt(0)                                       // 000000009664: BF8CC07F
	s_barrier                                                  // 000000009668: BF8A0000
	s_waitcnt vmcnt(40)                                        // 00000000966C: BF8C8F78
	v_mfma_i32_16x16x32_i8 v[176:179], a[96:97], v[192:193], 0 // 000000009670: D3D700B0 0A038160
	buffer_load_dwordx4 a[224:227], v42, s[24:27], 0 offen     // 000000009678: E05C1000 8086E02A
	v_mfma_i32_16x16x32_i8 v[176:179], a[98:99], v[194:195], v[176:179]// 000000009680: D3D700B0 0EC38562
	ds_read_b64 v[224:225], v13 offset:2048                    // 000000009688: D8EC0800 E000000D
	ds_read_b64 v[226:227], v13 offset:2176                    // 000000009690: D8EC0880 E200000D
	v_mfma_i32_16x16x32_i8 v[176:179], a[100:101], v[196:197], v[176:179]// 000000009698: D3D700B0 0EC38964
	v_mfma_i32_16x16x32_i8 v[176:179], a[102:103], v[198:199], v[176:179]// 0000000096A0: D3D700B0 0EC38D66
	ds_read_b64 v[228:229], v13 offset:3072                    // 0000000096A8: D8EC0C00 E400000D
	ds_read_b64 v[230:231], v13 offset:3200                    // 0000000096B0: D8EC0C80 E600000D
	v_mfma_i32_16x16x32_i8 v[176:179], a[104:105], v[200:201], v[176:179]// 0000000096B8: D3D700B0 0EC39168
	buffer_load_dwordx4 a[228:231], v42, s[24:27], 0 offen offset:1024// 0000000096C0: E05C1400 8086E42A
	v_mfma_i32_16x16x32_i8 v[176:179], a[106:107], v[202:203], v[176:179]// 0000000096C8: D3D700B0 0EC3956A
	ds_read_b64 v[232:233], v13 offset:4096                    // 0000000096D0: D8EC1000 E800000D
	ds_read_b64 v[234:235], v13 offset:4224                    // 0000000096D8: D8EC1080 EA00000D
	v_mfma_i32_16x16x32_i8 v[176:179], a[108:109], v[204:205], v[176:179]// 0000000096E0: D3D700B0 0EC3996C
	v_mfma_i32_16x16x32_i8 v[176:179], a[110:111], v[206:207], v[176:179]// 0000000096E8: D3D700B0 0EC39D6E
	ds_read_b64 v[236:237], v13 offset:5120                    // 0000000096F0: D8EC1400 EC00000D
	ds_read_b64 v[238:239], v13 offset:5248                    // 0000000096F8: D8EC1480 EE00000D
	v_cvt_f32_i32_e32 v160, v160                               // 000000009700: 7F400BA0
	v_cvt_f32_i32_e32 v161, v161                               // 000000009704: 7F420BA1
	v_cvt_f32_i32_e32 v162, v162                               // 000000009708: 7F440BA2
	v_cvt_f32_i32_e32 v163, v163                               // 00000000970C: 7F460BA3
	v_cvt_f32_i32_e32 v164, v164                               // 000000009710: 7F480BA4
	v_cvt_f32_i32_e32 v165, v165                               // 000000009714: 7F4A0BA5
	v_cvt_f32_i32_e32 v166, v166                               // 000000009718: 7F4C0BA6
	v_cvt_f32_i32_e32 v167, v167                               // 00000000971C: 7F4E0BA7
	v_pk_fma_f32 v[80:81], v[24:25], v[144:145], v[80:81]      // 000000009720: D3B04050 1D432118
	v_pk_fma_f32 v[82:83], v[24:25], v[146:147], v[82:83]      // 000000009728: D3B04052 1D4B2518
	v_pk_fma_f32 v[84:85], v[8:9], v[148:149], v[84:85]        // 000000009730: D3B04054 1D532908
	v_pk_fma_f32 v[86:87], v[8:9], v[150:151], v[86:87]        // 000000009738: D3B04056 1D5B2D08
	v_pk_fma_f32 v[88:89], v[24:25], v[152:153], v[88:89]      // 000000009740: D3B04058 1D633118
	v_pk_fma_f32 v[90:91], v[24:25], v[154:155], v[90:91]      // 000000009748: D3B0405A 1D6B3518
	v_pk_fma_f32 v[92:93], v[8:9], v[156:157], v[92:93]        // 000000009750: D3B0405C 1D733908
	v_pk_fma_f32 v[94:95], v[8:9], v[158:159], v[94:95]        // 000000009758: D3B0405E 1D7B3D08
	v_mfma_i32_16x16x32_i8 v[180:183], a[96:97], v[208:209], 0 // 000000009760: D3D700B4 0A03A160
	buffer_load_dwordx4 a[232:235], v42, s[24:27], 0 offen offset:2048// 000000009768: E05C1800 8086E82A
	v_mfma_i32_16x16x32_i8 v[180:183], a[98:99], v[210:211], v[180:183]// 000000009770: D3D700B4 0ED3A562
	ds_read_b64 v[240:241], v13 offset:6144                    // 000000009778: D8EC1800 F000000D
	ds_read_b64 v[242:243], v13 offset:6272                    // 000000009780: D8EC1880 F200000D
	v_mfma_i32_16x16x32_i8 v[180:183], a[100:101], v[212:213], v[180:183]// 000000009788: D3D700B4 0ED3A964
	v_mfma_i32_16x16x32_i8 v[180:183], a[102:103], v[214:215], v[180:183]// 000000009790: D3D700B4 0ED3AD66
	ds_read_b64 v[244:245], v13 offset:7168                    // 000000009798: D8EC1C00 F400000D
	ds_read_b64 v[246:247], v13 offset:7296                    // 0000000097A0: D8EC1C80 F600000D
	v_mfma_i32_16x16x32_i8 v[180:183], a[104:105], v[216:217], v[180:183]// 0000000097A8: D3D700B4 0ED3B168
	buffer_load_dwordx4 a[236:239], v42, s[24:27], 0 offen offset:3072// 0000000097B0: E05C1C00 8086EC2A
	v_mfma_i32_16x16x32_i8 v[180:183], a[106:107], v[218:219], v[180:183]// 0000000097B8: D3D700B4 0ED3B56A
	ds_read_b64 v[248:249], v13 offset:8192                    // 0000000097C0: D8EC2000 F800000D
	ds_read_b64 v[250:251], v13 offset:8320                    // 0000000097C8: D8EC2080 FA00000D
	v_mfma_i32_16x16x32_i8 v[180:183], a[108:109], v[220:221], v[180:183]// 0000000097D0: D3D700B4 0ED3B96C
	v_mfma_i32_16x16x32_i8 v[180:183], a[110:111], v[222:223], v[180:183]// 0000000097D8: D3D700B4 0ED3BD6E
	ds_read_b64 v[252:253], v13 offset:9216                    // 0000000097E0: D8EC2400 FC00000D
	ds_read_b64 v[254:255], v13 offset:9344                    // 0000000097E8: D8EC2480 FE00000D
	v_cvt_f32_i32_e32 v168, v168                               // 0000000097F0: 7F500BA8
	v_cvt_f32_i32_e32 v169, v169                               // 0000000097F4: 7F520BA9
	v_cvt_f32_i32_e32 v170, v170                               // 0000000097F8: 7F540BAA
	v_cvt_f32_i32_e32 v171, v171                               // 0000000097FC: 7F560BAB
	v_cvt_f32_i32_e32 v172, v172                               // 000000009800: 7F580BAC
	v_cvt_f32_i32_e32 v173, v173                               // 000000009804: 7F5A0BAD
	v_cvt_f32_i32_e32 v174, v174                               // 000000009808: 7F5C0BAE
	v_cvt_f32_i32_e32 v175, v175                               // 00000000980C: 7F5E0BAF
	v_pk_fma_f32 v[96:97], v[24:25], v[160:161], v[96:97]      // 000000009810: D3B04060 1D834118
	v_pk_fma_f32 v[98:99], v[24:25], v[162:163], v[98:99]      // 000000009818: D3B04062 1D8B4518
	v_pk_fma_f32 v[100:101], v[8:9], v[164:165], v[100:101]    // 000000009820: D3B04064 1D934908
	v_pk_fma_f32 v[102:103], v[8:9], v[166:167], v[102:103]    // 000000009828: D3B04066 1D9B4D08
	v_pk_fma_f32 v[104:105], v[24:25], v[168:169], v[104:105]  // 000000009830: D3B04068 1DA35118
	v_pk_fma_f32 v[106:107], v[24:25], v[170:171], v[106:107]  // 000000009838: D3B0406A 1DAB5518
	v_pk_fma_f32 v[108:109], v[8:9], v[172:173], v[108:109]    // 000000009840: D3B0406C 1DB35908
	v_pk_fma_f32 v[110:111], v[8:9], v[174:175], v[110:111]    // 000000009848: D3B0406E 1DBB5D08
	v_mfma_i32_16x16x32_i8 v[184:187], a[112:113], v[192:193], 0// 000000009850: D3D700B8 0A038170
	buffer_load_dwordx4 a[240:243], v43, s[24:27], 0 offen     // 000000009858: E05C1000 8086F02B
	v_mfma_i32_16x16x32_i8 v[184:187], a[114:115], v[194:195], v[184:187]// 000000009860: D3D700B8 0EE38572
	v_mfma_i32_16x16x32_i8 v[184:187], a[116:117], v[196:197], v[184:187]// 000000009868: D3D700B8 0EE38974
	v_mfma_i32_16x16x32_i8 v[184:187], a[118:119], v[198:199], v[184:187]// 000000009870: D3D700B8 0EE38D76
	v_mfma_i32_16x16x32_i8 v[184:187], a[120:121], v[200:201], v[184:187]// 000000009878: D3D700B8 0EE39178
	buffer_load_dwordx4 a[244:247], v43, s[24:27], 0 offen offset:1024// 000000009880: E05C1400 8086F42B
	v_mfma_i32_16x16x32_i8 v[184:187], a[122:123], v[202:203], v[184:187]// 000000009888: D3D700B8 0EE3957A
	v_mfma_i32_16x16x32_i8 v[184:187], a[124:125], v[204:205], v[184:187]// 000000009890: D3D700B8 0EE3997C
	v_mfma_i32_16x16x32_i8 v[184:187], a[126:127], v[206:207], v[184:187]// 000000009898: D3D700B8 0EE39D7E
	v_mfma_i32_16x16x32_i8 v[188:191], a[112:113], v[208:209], 0// 0000000098A0: D3D700BC 0A03A170
	buffer_load_dwordx4 a[248:251], v43, s[24:27], 0 offen offset:2048// 0000000098A8: E05C1800 8086F82B
	v_mfma_i32_16x16x32_i8 v[188:191], a[114:115], v[210:211], v[188:191]// 0000000098B0: D3D700BC 0EF3A572
	v_mfma_i32_16x16x32_i8 v[188:191], a[116:117], v[212:213], v[188:191]// 0000000098B8: D3D700BC 0EF3A974
	v_mfma_i32_16x16x32_i8 v[188:191], a[118:119], v[214:215], v[188:191]// 0000000098C0: D3D700BC 0EF3AD76
	v_mfma_i32_16x16x32_i8 v[188:191], a[120:121], v[216:217], v[188:191]// 0000000098C8: D3D700BC 0EF3B178
	buffer_load_dwordx4 a[252:255], v43, s[24:27], 0 offen offset:3072// 0000000098D0: E05C1C00 8086FC2B
	v_mfma_i32_16x16x32_i8 v[188:191], a[122:123], v[218:219], v[188:191]// 0000000098D8: D3D700BC 0EF3B57A
	v_mfma_i32_16x16x32_i8 v[188:191], a[124:125], v[220:221], v[188:191]// 0000000098E0: D3D700BC 0EF3B97C
	s_add_u32 s24, s58, s24                                    // 0000000098E8: 8018183A
	s_addc_u32 s25, 0, s25                                     // 0000000098EC: 82191980
	s_add_u32 s28, s84, s28                                    // 0000000098F0: 801C1C54
	s_addc_u32 s29, 0, s29                                     // 0000000098F4: 821D1D80
	v_mfma_i32_16x16x32_i8 v[188:191], a[126:127], v[222:223], v[188:191]// 0000000098F8: D3D700BC 0EF3BD7E
	v_cvt_f32_i32_e32 v176, v176                               // 000000009900: 7F600BB0
	v_cvt_f32_i32_e32 v177, v177                               // 000000009904: 7F620BB1
	v_cvt_f32_i32_e32 v178, v178                               // 000000009908: 7F640BB2
	v_cvt_f32_i32_e32 v179, v179                               // 00000000990C: 7F660BB3
	v_cvt_f32_i32_e32 v180, v180                               // 000000009910: 7F680BB4
	v_cvt_f32_i32_e32 v181, v181                               // 000000009914: 7F6A0BB5
	v_cvt_f32_i32_e32 v182, v182                               // 000000009918: 7F6C0BB6
	v_cvt_f32_i32_e32 v183, v183                               // 00000000991C: 7F6E0BB7
	v_cvt_f32_i32_e32 v184, v184                               // 000000009920: 7F700BB8
	v_cvt_f32_i32_e32 v185, v185                               // 000000009924: 7F720BB9
	v_cvt_f32_i32_e32 v186, v186                               // 000000009928: 7F740BBA
	v_cvt_f32_i32_e32 v187, v187                               // 00000000992C: 7F760BBB
	v_cvt_f32_i32_e32 v188, v188                               // 000000009930: 7F780BBC
	v_cvt_f32_i32_e32 v189, v189                               // 000000009934: 7F7A0BBD
	v_cvt_f32_i32_e32 v190, v190                               // 000000009938: 7F7C0BBE
	v_cvt_f32_i32_e32 v191, v191                               // 00000000993C: 7F7E0BBF
	v_pk_fma_f32 v[112:113], v[24:25], v[176:177], v[112:113]  // 000000009940: D3B04070 1DC36118
	v_pk_fma_f32 v[114:115], v[24:25], v[178:179], v[114:115]  // 000000009948: D3B04072 1DCB6518
	v_pk_fma_f32 v[116:117], v[8:9], v[180:181], v[116:117]    // 000000009950: D3B04074 1DD36908
	v_pk_fma_f32 v[118:119], v[8:9], v[182:183], v[118:119]    // 000000009958: D3B04076 1DDB6D08
	v_pk_fma_f32 v[120:121], v[24:25], v[184:185], v[120:121]  // 000000009960: D3B04078 1DE37118
	v_pk_fma_f32 v[122:123], v[24:25], v[186:187], v[122:123]  // 000000009968: D3B0407A 1DEB7518
	v_pk_fma_f32 v[124:125], v[8:9], v[188:189], v[124:125]    // 000000009970: D3B0407C 1DF37908
	v_pk_fma_f32 v[126:127], v[8:9], v[190:191], v[126:127]    // 000000009978: D3B0407E 1DFB7D08
	s_addk_i32 s80, 0x100                                      // 000000009980: B7500100
	s_cmp_lt_i32 s80, s81                                      // 000000009984: BF045150
	s_cbranch_scc0 label_1F4A                                  // 000000009988: BF8403A7
	s_waitcnt vmcnt(24) lgkmcnt(0)                             // 00000000998C: BF8C4078
	s_barrier                                                  // 000000009990: BF8A0000
	v_mfma_i32_16x16x32_i8 v[128:131], a[128:129], v[224:225], 0// 000000009994: D3D70080 0A03C180
	buffer_load_dwordx4 a[0:3], v36, s[24:27], 0 offen         // 00000000999C: E05C1000 80860024
	v_mfma_i32_16x16x32_i8 v[128:131], a[130:131], v[226:227], v[128:131]// 0000000099A4: D3D70080 0E03C582
	ds_read_b64 v[192:193], v2 offset:18432                    // 0000000099AC: D8EC4800 C0000002
	ds_read_b64 v[196:197], v2 offset:26752                    // 0000000099B4: D8EC6880 C4000002
	v_mfma_i32_16x16x32_i8 v[128:131], a[132:133], v[228:229], v[128:131]// 0000000099BC: D3D70080 0E03C984
	buffer_load_dword v28, s[20:23], 0 offen lds               // 0000000099C4: E0511000 8005001C
	buffer_load_dword v28, s[20:23], 0 offen offset:256 lds    // 0000000099CC: E0511100 8005001C
	s_add_u32 m0, 0x820, s51                                   // 0000000099D4: 807C33FF 00000820
	buffer_load_dword v15, v6, s[28:31], 0 offen               // 0000000099DC: E0501000 80070F06
	v_mfma_i32_16x16x32_i8 v[128:131], a[134:135], v[230:231], v[128:131]// 0000000099E4: D3D70080 0E03CD86
	ds_read_b64 v[200:201], v2 offset:18560                    // 0000000099EC: D8EC4880 C8000002
	ds_read_b64 v[204:205], v2 offset:26880                    // 0000000099F4: D8EC6900 CC000002
	v_mfma_i32_16x16x32_i8 v[128:131], a[136:137], v[232:233], v[128:131]// 0000000099FC: D3D70080 0E03D188
	buffer_load_dwordx4 a[4:7], v36, s[24:27], 0 offen offset:1024// 000000009A04: E05C1400 80860424
	v_mfma_i32_16x16x32_i8 v[128:131], a[138:139], v[234:235], v[128:131]// 000000009A0C: D3D70080 0E03D58A
	ds_read_b64 v[208:209], v2 offset:18688                    // 000000009A14: D8EC4900 D0000002
	ds_read_b64 v[212:213], v2 offset:27008                    // 000000009A1C: D8EC6980 D4000002
	v_mfma_i32_16x16x32_i8 v[128:131], a[140:141], v[236:237], v[128:131]// 000000009A24: D3D70080 0E03D98C
	buffer_load_dword v29, s[20:23], 0 offen lds               // 000000009A2C: E0511000 8005001D
	buffer_load_dword v29, s[20:23], 0 offen offset:256 lds    // 000000009A34: E0511100 8005001D
	s_add_u32 m0, 0x1040, s51                                  // 000000009A3C: 807C33FF 00001040
	v_mfma_i32_16x16x32_i8 v[128:131], a[142:143], v[238:239], v[128:131]// 000000009A44: D3D70080 0E03DD8E
	ds_read_b64 v[216:217], v2 offset:18816                    // 000000009A4C: D8EC4980 D8000002
	ds_read_b64 v[220:221], v2 offset:27136                    // 000000009A54: D8EC6A00 DC000002
	s_waitcnt lgkmcnt(4)                                       // 000000009A5C: BF8CC47F
	v_and_b32_e32 v195, 0xffff0000, v193                       // 000000009A60: 278782FF FFFF0000
	v_lshlrev_b32_e32 v194, 16, v193                           // 000000009A68: 25858290
	v_and_b32_e32 v193, 0xffff0000, v192                       // 000000009A6C: 278380FF FFFF0000
	v_lshlrev_b32_e32 v192, 16, v192                           // 000000009A74: 25818090
	v_and_b32_e32 v199, 0xffff0000, v197                       // 000000009A78: 278F8AFF FFFF0000
	v_lshlrev_b32_e32 v198, 16, v197                           // 000000009A80: 258D8A90
	v_and_b32_e32 v197, 0xffff0000, v196                       // 000000009A84: 278B88FF FFFF0000
	v_lshlrev_b32_e32 v196, 16, v196                           // 000000009A8C: 25898890
	v_and_b32_e32 v203, 0xffff0000, v201                       // 000000009A90: 279792FF FFFF0000
	v_lshlrev_b32_e32 v202, 16, v201                           // 000000009A98: 25959290
	v_and_b32_e32 v201, 0xffff0000, v200                       // 000000009A9C: 279390FF FFFF0000
	v_lshlrev_b32_e32 v200, 16, v200                           // 000000009AA4: 25919090
	v_and_b32_e32 v207, 0xffff0000, v205                       // 000000009AA8: 279F9AFF FFFF0000
	v_lshlrev_b32_e32 v206, 16, v205                           // 000000009AB0: 259D9A90
	v_and_b32_e32 v205, 0xffff0000, v204                       // 000000009AB4: 279B98FF FFFF0000
	v_lshlrev_b32_e32 v204, 16, v204                           // 000000009ABC: 25999890
	v_mul_f32_dpp v192, v14, v192 row_newbcast:0 row_mask:0xf bank_mask:0xf// 000000009AC0: 0B8180FA FF01500E
	v_mul_f32_dpp v193, v14, v193 row_newbcast:1 row_mask:0xf bank_mask:0xf// 000000009AC8: 0B8382FA FF01510E
	v_mul_f32_dpp v194, v14, v194 row_newbcast:2 row_mask:0xf bank_mask:0xf// 000000009AD0: 0B8584FA FF01520E
	v_mul_f32_dpp v195, v14, v195 row_newbcast:3 row_mask:0xf bank_mask:0xf// 000000009AD8: 0B8786FA FF01530E
	v_mul_f32_dpp v196, v14, v196 row_newbcast:0 row_mask:0xf bank_mask:0xf// 000000009AE0: 0B8988FA FF01500E
	v_mul_f32_dpp v197, v14, v197 row_newbcast:1 row_mask:0xf bank_mask:0xf// 000000009AE8: 0B8B8AFA FF01510E
	v_mul_f32_dpp v198, v14, v198 row_newbcast:2 row_mask:0xf bank_mask:0xf// 000000009AF0: 0B8D8CFA FF01520E
	v_mul_f32_dpp v199, v14, v199 row_newbcast:3 row_mask:0xf bank_mask:0xf// 000000009AF8: 0B8F8EFA FF01530E
	v_mul_f32_dpp v200, v14, v200 row_newbcast:4 row_mask:0xf bank_mask:0xf// 000000009B00: 0B9190FA FF01540E
	v_mul_f32_dpp v201, v14, v201 row_newbcast:5 row_mask:0xf bank_mask:0xf// 000000009B08: 0B9392FA FF01550E
	v_mul_f32_dpp v202, v14, v202 row_newbcast:6 row_mask:0xf bank_mask:0xf// 000000009B10: 0B9594FA FF01560E
	v_mul_f32_dpp v203, v14, v203 row_newbcast:7 row_mask:0xf bank_mask:0xf// 000000009B18: 0B9796FA FF01570E
	v_mul_f32_dpp v204, v14, v204 row_newbcast:4 row_mask:0xf bank_mask:0xf// 000000009B20: 0B9998FA FF01540E
	v_mul_f32_dpp v205, v14, v205 row_newbcast:5 row_mask:0xf bank_mask:0xf// 000000009B28: 0B9B9AFA FF01550E
	v_mul_f32_dpp v206, v14, v206 row_newbcast:6 row_mask:0xf bank_mask:0xf// 000000009B30: 0B9D9CFA FF01560E
	v_mul_f32_dpp v207, v14, v207 row_newbcast:7 row_mask:0xf bank_mask:0xf// 000000009B38: 0B9F9EFA FF01570E
	v_mfma_i32_16x16x32_i8 v[132:135], a[128:129], v[240:241], 0// 000000009B40: D3D70084 0A03E180
	buffer_load_dwordx4 a[8:11], v36, s[24:27], 0 offen offset:2048// 000000009B48: E05C1800 80860824
	v_mfma_i32_16x16x32_i8 v[132:135], a[130:131], v[242:243], v[132:135]// 000000009B50: D3D70084 0E13E582
	v_mfma_i32_16x16x32_i8 v[132:135], a[132:133], v[244:245], v[132:135]// 000000009B58: D3D70084 0E13E984
	buffer_load_dword v30, s[20:23], 0 offen lds               // 000000009B60: E0511000 8005001E
	buffer_load_dword v30, s[20:23], 0 offen offset:256 lds    // 000000009B68: E0511100 8005001E
	s_add_u32 m0, 0x1860, s51                                  // 000000009B70: 807C33FF 00001860
	v_mfma_i32_16x16x32_i8 v[132:135], a[134:135], v[246:247], v[132:135]// 000000009B78: D3D70084 0E13ED86
	v_mfma_i32_16x16x32_i8 v[132:135], a[136:137], v[248:249], v[132:135]// 000000009B80: D3D70084 0E13F188
	buffer_load_dwordx4 a[12:15], v36, s[24:27], 0 offen offset:3072// 000000009B88: E05C1C00 80860C24
	v_mfma_i32_16x16x32_i8 v[132:135], a[138:139], v[250:251], v[132:135]// 000000009B90: D3D70084 0E13F58A
	v_mfma_i32_16x16x32_i8 v[132:135], a[140:141], v[252:253], v[132:135]// 000000009B98: D3D70084 0E13F98C
	buffer_load_dword v31, s[20:23], 0 offen lds               // 000000009BA0: E0511000 8005001F
	buffer_load_dword v31, s[20:23], 0 offen offset:256 lds    // 000000009BA8: E0511100 8005001F
	s_add_u32 m0, 0x2080, s51                                  // 000000009BB0: 807C33FF 00002080
	v_mfma_i32_16x16x32_i8 v[132:135], a[142:143], v[254:255], v[132:135]// 000000009BB8: D3D70084 0E13FD8E
	s_waitcnt lgkmcnt(0)                                       // 000000009BC0: BF8CC07F
	v_and_b32_e32 v211, 0xffff0000, v209                       // 000000009BC4: 27A7A2FF FFFF0000
	v_lshlrev_b32_e32 v210, 16, v209                           // 000000009BCC: 25A5A290
	v_and_b32_e32 v209, 0xffff0000, v208                       // 000000009BD0: 27A3A0FF FFFF0000
	v_lshlrev_b32_e32 v208, 16, v208                           // 000000009BD8: 25A1A090
	v_and_b32_e32 v215, 0xffff0000, v213                       // 000000009BDC: 27AFAAFF FFFF0000
	v_lshlrev_b32_e32 v214, 16, v213                           // 000000009BE4: 25ADAA90
	v_and_b32_e32 v213, 0xffff0000, v212                       // 000000009BE8: 27ABA8FF FFFF0000
	v_lshlrev_b32_e32 v212, 16, v212                           // 000000009BF0: 25A9A890
	v_and_b32_e32 v219, 0xffff0000, v217                       // 000000009BF4: 27B7B2FF FFFF0000
	v_lshlrev_b32_e32 v218, 16, v217                           // 000000009BFC: 25B5B290
	v_and_b32_e32 v217, 0xffff0000, v216                       // 000000009C00: 27B3B0FF FFFF0000
	v_lshlrev_b32_e32 v216, 16, v216                           // 000000009C08: 25B1B090
	v_and_b32_e32 v223, 0xffff0000, v221                       // 000000009C0C: 27BFBAFF FFFF0000
	v_lshlrev_b32_e32 v222, 16, v221                           // 000000009C14: 25BDBA90
	v_and_b32_e32 v221, 0xffff0000, v220                       // 000000009C18: 27BBB8FF FFFF0000
	v_lshlrev_b32_e32 v220, 16, v220                           // 000000009C20: 25B9B890
	v_mul_f32_dpp v208, v14, v208 row_newbcast:8 row_mask:0xf bank_mask:0xf// 000000009C24: 0BA1A0FA FF01580E
	v_mul_f32_dpp v209, v14, v209 row_newbcast:9 row_mask:0xf bank_mask:0xf// 000000009C2C: 0BA3A2FA FF01590E
	v_mul_f32_dpp v210, v14, v210 row_newbcast:10 row_mask:0xf bank_mask:0xf// 000000009C34: 0BA5A4FA FF015A0E
	v_mul_f32_dpp v211, v14, v211 row_newbcast:11 row_mask:0xf bank_mask:0xf// 000000009C3C: 0BA7A6FA FF015B0E
	v_mul_f32_dpp v212, v14, v212 row_newbcast:8 row_mask:0xf bank_mask:0xf// 000000009C44: 0BA9A8FA FF01580E
	v_mul_f32_dpp v213, v14, v213 row_newbcast:9 row_mask:0xf bank_mask:0xf// 000000009C4C: 0BABAAFA FF01590E
	v_mul_f32_dpp v214, v14, v214 row_newbcast:10 row_mask:0xf bank_mask:0xf// 000000009C54: 0BADACFA FF015A0E
	v_mul_f32_dpp v215, v14, v215 row_newbcast:11 row_mask:0xf bank_mask:0xf// 000000009C5C: 0BAFAEFA FF015B0E
	v_mul_f32_dpp v216, v14, v216 row_newbcast:12 row_mask:0xf bank_mask:0xf// 000000009C64: 0BB1B0FA FF015C0E
	v_mul_f32_dpp v217, v14, v217 row_newbcast:13 row_mask:0xf bank_mask:0xf// 000000009C6C: 0BB3B2FA FF015D0E
	v_mul_f32_dpp v218, v14, v218 row_newbcast:14 row_mask:0xf bank_mask:0xf// 000000009C74: 0BB5B4FA FF015E0E
	v_mul_f32_dpp v219, v14, v219 row_newbcast:15 row_mask:0xf bank_mask:0xf// 000000009C7C: 0BB7B6FA FF015F0E
	v_mul_f32_dpp v220, v14, v220 row_newbcast:12 row_mask:0xf bank_mask:0xf// 000000009C84: 0BB9B8FA FF015C0E
	v_mul_f32_dpp v221, v14, v221 row_newbcast:13 row_mask:0xf bank_mask:0xf// 000000009C8C: 0BBBBAFA FF015D0E
	v_mul_f32_dpp v222, v14, v222 row_newbcast:14 row_mask:0xf bank_mask:0xf// 000000009C94: 0BBDBCFA FF015E0E
	v_mul_f32_dpp v223, v14, v223 row_newbcast:15 row_mask:0xf bank_mask:0xf// 000000009C9C: 0BBFBEFA FF015F0E
	v_mfma_i32_16x16x32_i8 v[136:139], a[144:145], v[224:225], 0// 000000009CA4: D3D70088 0A03C190
	buffer_load_dwordx4 a[16:19], v37, s[24:27], 0 offen       // 000000009CAC: E05C1000 80861025
	v_mfma_i32_16x16x32_i8 v[136:139], a[146:147], v[226:227], v[136:139]// 000000009CB4: D3D70088 0E23C592
	v_mfma_i32_16x16x32_i8 v[136:139], a[148:149], v[228:229], v[136:139]// 000000009CBC: D3D70088 0E23C994
	buffer_load_dword v32, s[20:23], 0 offen lds               // 000000009CC4: E0511000 80050020
	buffer_load_dword v32, s[20:23], 0 offen offset:256 lds    // 000000009CCC: E0511100 80050020
	s_add_u32 m0, 0x28a0, s51                                  // 000000009CD4: 807C33FF 000028A0
	v_mfma_i32_16x16x32_i8 v[136:139], a[150:151], v[230:231], v[136:139]// 000000009CDC: D3D70088 0E23CD96
	v_mfma_i32_16x16x32_i8 v[136:139], a[152:153], v[232:233], v[136:139]// 000000009CE4: D3D70088 0E23D198
	buffer_load_dwordx4 a[20:23], v37, s[24:27], 0 offen offset:1024// 000000009CEC: E05C1400 80861425
	v_mfma_i32_16x16x32_i8 v[136:139], a[154:155], v[234:235], v[136:139]// 000000009CF4: D3D70088 0E23D59A
	v_mfma_i32_16x16x32_i8 v[136:139], a[156:157], v[236:237], v[136:139]// 000000009CFC: D3D70088 0E23D99C
	buffer_load_dword v33, s[20:23], 0 offen lds               // 000000009D04: E0511000 80050021
	buffer_load_dword v33, s[20:23], 0 offen offset:256 lds    // 000000009D0C: E0511100 80050021
	s_add_u32 m0, 0x30c0, s51                                  // 000000009D14: 807C33FF 000030C0
	v_mfma_i32_16x16x32_i8 v[136:139], a[158:159], v[238:239], v[136:139]// 000000009D1C: D3D70088 0E23DD9E
	v_mov_b32_e32 v48, 0x358637bd                              // 000000009D24: 7E6002FF 358637BD
	v_mov_b32_e32 v49, 0x358637bd                              // 000000009D2C: 7E6202FF 358637BD
	v_max3_f32 v48, |v192|, |v193|, v48                        // 000000009D34: D1D30330 04C383C0
	v_max3_f32 v48, |v194|, |v195|, v48                        // 000000009D3C: D1D30330 04C387C2
	v_max3_f32 v49, |v196|, |v197|, v49                        // 000000009D44: D1D30331 04C78BC4
	v_max3_f32 v49, |v198|, |v199|, v49                        // 000000009D4C: D1D30331 04C78FC6
	v_max3_f32 v48, |v200|, |v201|, v48                        // 000000009D54: D1D30330 04C393C8
	v_max3_f32 v48, |v202|, |v203|, v48                        // 000000009D5C: D1D30330 04C397CA
	v_max3_f32 v49, |v204|, |v205|, v49                        // 000000009D64: D1D30331 04C79BCC
	v_max3_f32 v49, |v206|, |v207|, v49                        // 000000009D6C: D1D30331 04C79FCE
	v_max3_f32 v48, |v208|, |v209|, v48                        // 000000009D74: D1D30330 04C3A3D0
	v_max3_f32 v48, |v210|, |v211|, v48                        // 000000009D7C: D1D30330 04C3A7D2
	v_max3_f32 v49, |v212|, |v213|, v49                        // 000000009D84: D1D30331 04C7ABD4
	v_max3_f32 v49, |v214|, |v215|, v49                        // 000000009D8C: D1D30331 04C7AFD6
	v_max3_f32 v48, |v216|, |v217|, v48                        // 000000009D94: D1D30330 04C3B3D8
	v_max3_f32 v48, |v218|, |v219|, v48                        // 000000009D9C: D1D30330 04C3B7DA
	v_max3_f32 v49, |v220|, |v221|, v49                        // 000000009DA4: D1D30331 04C7BBDC
	v_max3_f32 v49, |v222|, |v223|, v49                        // 000000009DAC: D1D30331 04C7BFDE
	v_mfma_i32_16x16x32_i8 v[140:143], a[144:145], v[240:241], 0// 000000009DB4: D3D7008C 0A03E190
	buffer_load_dwordx4 a[24:27], v37, s[24:27], 0 offen offset:2048// 000000009DBC: E05C1800 80861825
	v_mfma_i32_16x16x32_i8 v[140:143], a[146:147], v[242:243], v[140:143]// 000000009DC4: D3D7008C 0E33E592
	ds_write_b64 v3, v[48:49]                                  // 000000009DCC: D89A0000 00003003
	v_mfma_i32_16x16x32_i8 v[140:143], a[148:149], v[244:245], v[140:143]// 000000009DD4: D3D7008C 0E33E994
	buffer_load_dword v34, s[20:23], 0 offen lds               // 000000009DDC: E0511000 80050022
	buffer_load_dword v34, s[20:23], 0 offen offset:256 lds    // 000000009DE4: E0511100 80050022
	s_add_u32 m0, 0x38e0, s51                                  // 000000009DEC: 807C33FF 000038E0
	v_mfma_i32_16x16x32_i8 v[140:143], a[150:151], v[246:247], v[140:143]// 000000009DF4: D3D7008C 0E33ED96
	v_mfma_i32_16x16x32_i8 v[140:143], a[152:153], v[248:249], v[140:143]// 000000009DFC: D3D7008C 0E33F198
	buffer_load_dwordx4 a[28:31], v37, s[24:27], 0 offen offset:3072// 000000009E04: E05C1C00 80861C25
	v_mfma_i32_16x16x32_i8 v[140:143], a[154:155], v[250:251], v[140:143]// 000000009E0C: D3D7008C 0E33F59A
	v_mfma_i32_16x16x32_i8 v[140:143], a[156:157], v[252:253], v[140:143]// 000000009E14: D3D7008C 0E33F99C
	buffer_load_dword v35, s[20:23], 0 offen lds               // 000000009E1C: E0511000 80050023
	buffer_load_dword v35, s[20:23], 0 offen offset:256 lds    // 000000009E24: E0511100 80050023
	s_add_u32 m0, 0, s50                                       // 000000009E2C: 807C3280
	v_mfma_i32_16x16x32_i8 v[140:143], a[158:159], v[254:255], v[140:143]// 000000009E30: D3D7008C 0E33FD9E
	s_waitcnt lgkmcnt(0)                                       // 000000009E38: BF8CC07F
	s_barrier                                                  // 000000009E3C: BF8A0000
	v_cvt_f32_i32_e32 v128, v128                               // 000000009E40: 7F000B80
	v_cvt_f32_i32_e32 v129, v129                               // 000000009E44: 7F020B81
	v_cvt_f32_i32_e32 v130, v130                               // 000000009E48: 7F040B82
	v_cvt_f32_i32_e32 v131, v131                               // 000000009E4C: 7F060B83
	v_cvt_f32_i32_e32 v132, v132                               // 000000009E50: 7F080B84
	v_cvt_f32_i32_e32 v133, v133                               // 000000009E54: 7F0A0B85
	v_cvt_f32_i32_e32 v134, v134                               // 000000009E58: 7F0C0B86
	v_cvt_f32_i32_e32 v135, v135                               // 000000009E5C: 7F0E0B87
	v_cvt_f32_i32_e32 v136, v136                               // 000000009E60: 7F100B88
	v_cvt_f32_i32_e32 v137, v137                               // 000000009E64: 7F120B89
	v_cvt_f32_i32_e32 v138, v138                               // 000000009E68: 7F140B8A
	v_cvt_f32_i32_e32 v139, v139                               // 000000009E6C: 7F160B8B
	v_cvt_f32_i32_e32 v140, v140                               // 000000009E70: 7F180B8C
	v_cvt_f32_i32_e32 v141, v141                               // 000000009E74: 7F1A0B8D
	v_cvt_f32_i32_e32 v142, v142                               // 000000009E78: 7F1C0B8E
	v_cvt_f32_i32_e32 v143, v143                               // 000000009E7C: 7F1E0B8F
	s_waitcnt vmcnt(40)                                        // 000000009E80: BF8C8F78
	v_mfma_i32_16x16x32_i8 v[144:147], a[160:161], v[224:225], 0// 000000009E84: D3D70090 0A03C1A0
	buffer_load_dwordx4 a[32:35], v38, s[24:27], 0 offen       // 000000009E8C: E05C1000 80862026
	v_mfma_i32_16x16x32_i8 v[144:147], a[162:163], v[226:227], v[144:147]// 000000009E94: D3D70090 0E43C5A2
	ds_read_b64 v[48:49], v4                                   // 000000009E9C: D8EC0000 30000004
	ds_read_b64 v[50:51], v4 offset:128                        // 000000009EA4: D8EC0080 32000004
	v_mfma_i32_16x16x32_i8 v[144:147], a[164:165], v[228:229], v[144:147]// 000000009EAC: D3D70090 0E43C9A4
	v_mfma_i32_16x16x32_i8 v[144:147], a[166:167], v[230:231], v[144:147]// 000000009EB4: D3D70090 0E43CDA6
	ds_read_b64 v[52:53], v4 offset:256                        // 000000009EBC: D8EC0100 34000004
	ds_read_b64 v[54:55], v4 offset:384                        // 000000009EC4: D8EC0180 36000004
	v_mfma_i32_16x16x32_i8 v[144:147], a[168:169], v[232:233], v[144:147]// 000000009ECC: D3D70090 0E43D1A8
	buffer_load_dwordx4 a[36:39], v38, s[24:27], 0 offen offset:1024// 000000009ED4: E05C1400 80862426
	v_mfma_i32_16x16x32_i8 v[144:147], a[170:171], v[234:235], v[144:147]// 000000009EDC: D3D70090 0E43D5AA
	ds_read_b64 v[56:57], v4 offset:512                        // 000000009EE4: D8EC0200 38000004
	ds_read_b64 v[58:59], v4 offset:640                        // 000000009EEC: D8EC0280 3A000004
	v_mfma_i32_16x16x32_i8 v[144:147], a[172:173], v[236:237], v[144:147]// 000000009EF4: D3D70090 0E43D9AC
	v_mfma_i32_16x16x32_i8 v[144:147], a[174:175], v[238:239], v[144:147]// 000000009EFC: D3D70090 0E43DDAE
	ds_read_b64 v[60:61], v4 offset:768                        // 000000009F04: D8EC0300 3C000004
	ds_read_b64 v[62:63], v4 offset:896                        // 000000009F0C: D8EC0380 3E000004
	v_mov_b32_e32 v8, v27                                      // 000000009F14: 7E10031B
	v_mov_b32_e32 v9, v27                                      // 000000009F18: 7E12031B
	v_mov_b32_e32 v27, v26                                     // 000000009F1C: 7E36031A
	v_pk_fma_f32 v[64:65], v[26:27], v[128:129], v[64:65]      // 000000009F20: D3B04040 1D03011A
	v_pk_fma_f32 v[66:67], v[26:27], v[130:131], v[66:67]      // 000000009F28: D3B04042 1D0B051A
	v_pk_fma_f32 v[68:69], v[8:9], v[132:133], v[68:69]        // 000000009F30: D3B04044 1D130908
	v_pk_fma_f32 v[70:71], v[8:9], v[134:135], v[70:71]        // 000000009F38: D3B04046 1D1B0D08
	v_pk_fma_f32 v[72:73], v[26:27], v[136:137], v[72:73]      // 000000009F40: D3B04048 1D23111A
	v_pk_fma_f32 v[74:75], v[26:27], v[138:139], v[74:75]      // 000000009F48: D3B0404A 1D2B151A
	v_pk_fma_f32 v[76:77], v[8:9], v[140:141], v[76:77]        // 000000009F50: D3B0404C 1D331908
	v_pk_fma_f32 v[78:79], v[8:9], v[142:143], v[78:79]        // 000000009F58: D3B0404E 1D3B1D08
	s_waitcnt lgkmcnt(0)                                       // 000000009F60: BF8CC07F
	v_mov_b32_e32 v22, 0x358637bd                              // 000000009F64: 7E2C02FF 358637BD
	v_mov_b32_e32 v23, 0x358637bd                              // 000000009F6C: 7E2E02FF 358637BD
	v_max3_f32 v22, |v48|, |v50|, v22                          // 000000009F74: D1D30316 045A6530
	v_max3_f32 v23, |v49|, |v51|, v23                          // 000000009F7C: D1D30317 045E6731
	v_max3_f32 v22, |v52|, |v54|, v22                          // 000000009F84: D1D30316 045A6D34
	v_max3_f32 v23, |v53|, |v55|, v23                          // 000000009F8C: D1D30317 045E6F35
	v_max3_f32 v22, |v56|, |v58|, v22                          // 000000009F94: D1D30316 045A7538
	v_max3_f32 v23, |v57|, |v59|, v23                          // 000000009F9C: D1D30317 045E7739
	v_max3_f32 v22, |v60|, |v62|, v22                          // 000000009FA4: D1D30316 045A7D3C
	v_max3_f32 v23, |v61|, |v63|, v23                          // 000000009FAC: D1D30317 045E7F3D
	v_mfma_i32_16x16x32_i8 v[148:151], a[160:161], v[240:241], 0// 000000009FB4: D3D70094 0A03E1A0
	buffer_load_dwordx4 a[40:43], v38, s[24:27], 0 offen offset:2048// 000000009FBC: E05C1800 80862826
	v_mfma_i32_16x16x32_i8 v[148:151], a[162:163], v[242:243], v[148:151]// 000000009FC4: D3D70094 0E53E5A2
	ds_read_b64 v[48:49], v4 offset:1024                       // 000000009FCC: D8EC0400 30000004
	ds_read_b64 v[50:51], v4 offset:1152                       // 000000009FD4: D8EC0480 32000004
	v_mfma_i32_16x16x32_i8 v[148:151], a[164:165], v[244:245], v[148:151]// 000000009FDC: D3D70094 0E53E9A4
	v_mfma_i32_16x16x32_i8 v[148:151], a[166:167], v[246:247], v[148:151]// 000000009FE4: D3D70094 0E53EDA6
	ds_read_b64 v[52:53], v4 offset:1280                       // 000000009FEC: D8EC0500 34000004
	ds_read_b64 v[54:55], v4 offset:1408                       // 000000009FF4: D8EC0580 36000004
	v_mfma_i32_16x16x32_i8 v[148:151], a[168:169], v[248:249], v[148:151]// 000000009FFC: D3D70094 0E53F1A8
	buffer_load_dwordx4 a[44:47], v38, s[24:27], 0 offen offset:3072// 00000000A004: E05C1C00 80862C26
	v_mfma_i32_16x16x32_i8 v[148:151], a[170:171], v[250:251], v[148:151]// 00000000A00C: D3D70094 0E53F5AA
	ds_read_b64 v[56:57], v4 offset:1536                       // 00000000A014: D8EC0600 38000004
	ds_read_b64 v[58:59], v4 offset:1664                       // 00000000A01C: D8EC0680 3A000004
	v_mfma_i32_16x16x32_i8 v[148:151], a[172:173], v[252:253], v[148:151]// 00000000A024: D3D70094 0E53F9AC
	v_mfma_i32_16x16x32_i8 v[148:151], a[174:175], v[254:255], v[148:151]// 00000000A02C: D3D70094 0E53FDAE
	ds_read_b64 v[60:61], v4 offset:1792                       // 00000000A034: D8EC0700 3C000004
	ds_read_b64 v[62:63], v4 offset:1920                       // 00000000A03C: D8EC0780 3E000004
	v_mfma_i32_16x16x32_i8 v[152:155], a[176:177], v[224:225], 0// 00000000A044: D3D70098 0A03C1B0
	buffer_load_dwordx4 a[48:51], v39, s[24:27], 0 offen       // 00000000A04C: E05C1000 80863027
	v_mfma_i32_16x16x32_i8 v[152:155], a[178:179], v[226:227], v[152:155]// 00000000A054: D3D70098 0E63C5B2
	v_mfma_i32_16x16x32_i8 v[152:155], a[180:181], v[228:229], v[152:155]// 00000000A05C: D3D70098 0E63C9B4
	v_mfma_i32_16x16x32_i8 v[152:155], a[182:183], v[230:231], v[152:155]// 00000000A064: D3D70098 0E63CDB6
	v_mfma_i32_16x16x32_i8 v[152:155], a[184:185], v[232:233], v[152:155]// 00000000A06C: D3D70098 0E63D1B8
	buffer_load_dwordx4 a[52:55], v39, s[24:27], 0 offen offset:1024// 00000000A074: E05C1400 80863427
	v_mfma_i32_16x16x32_i8 v[152:155], a[186:187], v[234:235], v[152:155]// 00000000A07C: D3D70098 0E63D5BA
	v_mfma_i32_16x16x32_i8 v[152:155], a[188:189], v[236:237], v[152:155]// 00000000A084: D3D70098 0E63D9BC
	v_mfma_i32_16x16x32_i8 v[152:155], a[190:191], v[238:239], v[152:155]// 00000000A08C: D3D70098 0E63DDBE
	s_waitcnt lgkmcnt(0)                                       // 00000000A094: BF8CC07F
	v_max3_f32 v22, |v48|, |v50|, v22                          // 00000000A098: D1D30316 045A6530
	v_max3_f32 v23, |v49|, |v51|, v23                          // 00000000A0A0: D1D30317 045E6731
	v_max3_f32 v22, |v52|, |v54|, v22                          // 00000000A0A8: D1D30316 045A6D34
	v_max3_f32 v23, |v53|, |v55|, v23                          // 00000000A0B0: D1D30317 045E6F35
	v_max3_f32 v22, |v56|, |v58|, v22                          // 00000000A0B8: D1D30316 045A7538
	v_max3_f32 v23, |v57|, |v59|, v23                          // 00000000A0C0: D1D30317 045E7739
	v_max3_f32 v22, |v60|, |v62|, v22                          // 00000000A0C8: D1D30316 045A7D3C
	v_max3_f32 v23, |v61|, |v63|, v23                          // 00000000A0D0: D1D30317 045E7F3D
	v_rcp_f32_e32 v22, v22                                     // 00000000A0D8: 7E2C4516
	v_rcp_f32_e32 v23, v23                                     // 00000000A0DC: 7E2E4517
	s_nop 1                                                    // 00000000A0E0: BF800001
	v_mul_f32_e32 v22, 0x42fe0000, v22                         // 00000000A0E4: 0A2C2CFF 42FE0000
	v_mul_f32_e32 v23, 0x42fe0000, v23                         // 00000000A0EC: 0A2E2EFF 42FE0000
	v_rcp_f32_e32 v24, v22                                     // 00000000A0F4: 7E304516
	v_rcp_f32_e32 v25, v23                                     // 00000000A0F8: 7E324517
	v_mfma_i32_16x16x32_i8 v[156:159], a[176:177], v[240:241], 0// 00000000A0FC: D3D7009C 0A03E1B0
	buffer_load_dwordx4 a[56:59], v39, s[24:27], 0 offen offset:2048// 00000000A104: E05C1800 80863827
	v_mfma_i32_16x16x32_i8 v[156:159], a[178:179], v[242:243], v[156:159]// 00000000A10C: D3D7009C 0E73E5B2
	v_mfma_i32_16x16x32_i8 v[156:159], a[180:181], v[244:245], v[156:159]// 00000000A114: D3D7009C 0E73E9B4
	v_mfma_i32_16x16x32_i8 v[156:159], a[182:183], v[246:247], v[156:159]// 00000000A11C: D3D7009C 0E73EDB6
	v_mfma_i32_16x16x32_i8 v[156:159], a[184:185], v[248:249], v[156:159]// 00000000A124: D3D7009C 0E73F1B8
	buffer_load_dwordx4 a[60:63], v39, s[24:27], 0 offen offset:3072// 00000000A12C: E05C1C00 80863C27
	v_mfma_i32_16x16x32_i8 v[156:159], a[186:187], v[250:251], v[156:159]// 00000000A134: D3D7009C 0E73F5BA
	v_mfma_i32_16x16x32_i8 v[156:159], a[188:189], v[252:253], v[156:159]// 00000000A13C: D3D7009C 0E73F9BC
	v_mfma_i32_16x16x32_i8 v[156:159], a[190:191], v[254:255], v[156:159]// 00000000A144: D3D7009C 0E73FDBE
	v_mul_f32_e32 v192, v22, v192                              // 00000000A14C: 0B818116
	v_mul_f32_e32 v193, v22, v193                              // 00000000A150: 0B838316
	v_mul_f32_e32 v194, v22, v194                              // 00000000A154: 0B858516
	v_mul_f32_e32 v195, v22, v195                              // 00000000A158: 0B878716
	v_cvt_i32_f32_e32 v192, v192                               // 00000000A15C: 7F8011C0
	v_cvt_i32_f32_e32 v193, v193                               // 00000000A160: 7F8211C1
	v_cvt_i32_f32_e32 v194, v194                               // 00000000A164: 7F8411C2
	v_cvt_i32_f32_e32 v195, v195                               // 00000000A168: 7F8611C3
	v_perm_b32 v192, v193, v192, s53                           // 00000000A16C: D1ED00C0 00D781C1
	v_perm_b32 v192, v194, v192, s54                           // 00000000A174: D1ED00C0 00DB81C2
	v_perm_b32 v192, v195, v192, s55                           // 00000000A17C: D1ED00C0 00DF81C3
	v_mul_f32_e32 v196, v23, v196                              // 00000000A184: 0B898917
	v_mul_f32_e32 v197, v23, v197                              // 00000000A188: 0B8B8B17
	v_mul_f32_e32 v198, v23, v198                              // 00000000A18C: 0B8D8D17
	v_mul_f32_e32 v199, v23, v199                              // 00000000A190: 0B8F8F17
	v_cvt_i32_f32_e32 v196, v196                               // 00000000A194: 7F8811C4
	v_cvt_i32_f32_e32 v197, v197                               // 00000000A198: 7F8A11C5
	v_cvt_i32_f32_e32 v198, v198                               // 00000000A19C: 7F8C11C6
	v_cvt_i32_f32_e32 v199, v199                               // 00000000A1A0: 7F8E11C7
	v_perm_b32 v193, v197, v196, s53                           // 00000000A1A4: D1ED00C1 00D789C5
	v_perm_b32 v193, v198, v193, s54                           // 00000000A1AC: D1ED00C1 00DB83C6
	v_perm_b32 v193, v199, v193, s55                           // 00000000A1B4: D1ED00C1 00DF83C7
	s_waitcnt vmcnt(40)                                        // 00000000A1BC: BF8C8F78
	v_mfma_i32_16x16x32_i8 v[160:163], a[192:193], v[224:225], 0// 00000000A1C0: D3D700A0 0A03C1C0
	buffer_load_dwordx4 a[64:67], v40, s[24:27], 0 offen       // 00000000A1C8: E05C1000 80864028
	v_mfma_i32_16x16x32_i8 v[160:163], a[194:195], v[226:227], v[160:163]// 00000000A1D0: D3D700A0 0E83C5C2
	v_mfma_i32_16x16x32_i8 v[160:163], a[196:197], v[228:229], v[160:163]// 00000000A1D8: D3D700A0 0E83C9C4
	s_add_u32 s60, 0x300, s80                                  // 00000000A1E0: 803C50FF 00000300
	s_cmp_lt_u32 s60, s81                                      // 00000000A1E8: BF0A513C
	s_cselect_b32 s57, s57, 0                                  // 00000000A1EC: 85398039
	s_cselect_b32 s84, s84, 0                                  // 00000000A1F0: 85548054
	v_mfma_i32_16x16x32_i8 v[160:163], a[198:199], v[230:231], v[160:163]// 00000000A1F4: D3D700A0 0E83CDC6
	v_mfma_i32_16x16x32_i8 v[160:163], a[200:201], v[232:233], v[160:163]// 00000000A1FC: D3D700A0 0E83D1C8
	buffer_load_dwordx4 a[68:71], v40, s[24:27], 0 offen offset:1024// 00000000A204: E05C1400 80864428
	v_mfma_i32_16x16x32_i8 v[160:163], a[202:203], v[234:235], v[160:163]// 00000000A20C: D3D700A0 0E83D5CA
	v_mfma_i32_16x16x32_i8 v[160:163], a[204:205], v[236:237], v[160:163]// 00000000A214: D3D700A0 0E83D9CC
	s_add_u32 s60, 0x200, s80                                  // 00000000A21C: 803C50FF 00000200
	s_cmp_lt_u32 s60, s81                                      // 00000000A224: BF0A513C
	s_cselect_b32 s58, s58, 0                                  // 00000000A228: 853A803A
	v_mfma_i32_16x16x32_i8 v[160:163], a[206:207], v[238:239], v[160:163]// 00000000A22C: D3D700A0 0E83DDCE
	v_mul_f32_e32 v200, v22, v200                              // 00000000A234: 0B919116
	v_mul_f32_e32 v201, v22, v201                              // 00000000A238: 0B939316
	v_mul_f32_e32 v202, v22, v202                              // 00000000A23C: 0B959516
	v_mul_f32_e32 v203, v22, v203                              // 00000000A240: 0B979716
	v_cvt_i32_f32_e32 v200, v200                               // 00000000A244: 7F9011C8
	v_cvt_i32_f32_e32 v201, v201                               // 00000000A248: 7F9211C9
	v_cvt_i32_f32_e32 v202, v202                               // 00000000A24C: 7F9411CA
	v_cvt_i32_f32_e32 v203, v203                               // 00000000A250: 7F9611CB
	v_perm_b32 v194, v201, v200, s53                           // 00000000A254: D1ED00C2 00D791C9
	v_perm_b32 v194, v202, v194, s54                           // 00000000A25C: D1ED00C2 00DB85CA
	v_perm_b32 v194, v203, v194, s55                           // 00000000A264: D1ED00C2 00DF85CB
	v_mul_f32_e32 v204, v23, v204                              // 00000000A26C: 0B999917
	v_mul_f32_e32 v205, v23, v205                              // 00000000A270: 0B9B9B17
	v_mul_f32_e32 v206, v23, v206                              // 00000000A274: 0B9D9D17
	v_mul_f32_e32 v207, v23, v207                              // 00000000A278: 0B9F9F17
	v_cvt_i32_f32_e32 v204, v204                               // 00000000A27C: 7F9811CC
	v_cvt_i32_f32_e32 v205, v205                               // 00000000A280: 7F9A11CD
	v_cvt_i32_f32_e32 v206, v206                               // 00000000A284: 7F9C11CE
	v_cvt_i32_f32_e32 v207, v207                               // 00000000A288: 7F9E11CF
	v_perm_b32 v195, v205, v204, s53                           // 00000000A28C: D1ED00C3 00D799CD
	v_perm_b32 v195, v206, v195, s54                           // 00000000A294: D1ED00C3 00DB87CE
	v_perm_b32 v195, v207, v195, s55                           // 00000000A29C: D1ED00C3 00DF87CF
	v_mfma_i32_16x16x32_i8 v[164:167], a[192:193], v[240:241], 0// 00000000A2A4: D3D700A4 0A03E1C0
	buffer_load_dwordx4 a[72:75], v40, s[24:27], 0 offen offset:2048// 00000000A2AC: E05C1800 80864828
	v_mfma_i32_16x16x32_i8 v[164:167], a[194:195], v[242:243], v[164:167]// 00000000A2B4: D3D700A4 0E93E5C2
	ds_write_b32 v12, v192 offset:2048                         // 00000000A2BC: D81A0800 0000C00C
	v_mfma_i32_16x16x32_i8 v[164:167], a[196:197], v[244:245], v[164:167]// 00000000A2C4: D3D700A4 0E93E9C4
	s_add_u32 s20, s57, s20                                    // 00000000A2CC: 80141439
	s_addc_u32 s21, 0, s21                                     // 00000000A2D0: 82151580
	v_mfma_i32_16x16x32_i8 v[164:167], a[198:199], v[246:247], v[164:167]// 00000000A2D4: D3D700A4 0E93EDC6
	ds_write_b32 v12, v193 offset:6144                         // 00000000A2DC: D81A1800 0000C10C
	v_mfma_i32_16x16x32_i8 v[164:167], a[200:201], v[248:249], v[164:167]// 00000000A2E4: D3D700A4 0E93F1C8
	buffer_load_dwordx4 a[76:79], v40, s[24:27], 0 offen offset:3072// 00000000A2EC: E05C1C00 80864C28
	v_mfma_i32_16x16x32_i8 v[164:167], a[202:203], v[250:251], v[164:167]// 00000000A2F4: D3D700A4 0E93F5CA
	ds_write_b32 v12, v194 offset:3072                         // 00000000A2FC: D81A0C00 0000C20C
	v_mfma_i32_16x16x32_i8 v[164:167], a[204:205], v[252:253], v[164:167]// 00000000A304: D3D700A4 0E93F9CC
	v_mfma_i32_16x16x32_i8 v[164:167], a[206:207], v[254:255], v[164:167]// 00000000A30C: D3D700A4 0E93FDCE
	ds_write_b32 v12, v195 offset:7168                         // 00000000A314: D81A1C00 0000C30C
	v_mul_f32_e32 v208, v22, v208                              // 00000000A31C: 0BA1A116
	v_mul_f32_e32 v209, v22, v209                              // 00000000A320: 0BA3A316
	v_mul_f32_e32 v210, v22, v210                              // 00000000A324: 0BA5A516
	v_mul_f32_e32 v211, v22, v211                              // 00000000A328: 0BA7A716
	v_cvt_i32_f32_e32 v208, v208                               // 00000000A32C: 7FA011D0
	v_cvt_i32_f32_e32 v209, v209                               // 00000000A330: 7FA211D1
	v_cvt_i32_f32_e32 v210, v210                               // 00000000A334: 7FA411D2
	v_cvt_i32_f32_e32 v211, v211                               // 00000000A338: 7FA611D3
	v_perm_b32 v196, v209, v208, s53                           // 00000000A33C: D1ED00C4 00D7A1D1
	v_perm_b32 v196, v210, v196, s54                           // 00000000A344: D1ED00C4 00DB89D2
	v_perm_b32 v196, v211, v196, s55                           // 00000000A34C: D1ED00C4 00DF89D3
	v_mul_f32_e32 v212, v23, v212                              // 00000000A354: 0BA9A917
	v_mul_f32_e32 v213, v23, v213                              // 00000000A358: 0BABAB17
	v_mul_f32_e32 v214, v23, v214                              // 00000000A35C: 0BADAD17
	v_mul_f32_e32 v215, v23, v215                              // 00000000A360: 0BAFAF17
	v_cvt_i32_f32_e32 v212, v212                               // 00000000A364: 7FA811D4
	v_cvt_i32_f32_e32 v213, v213                               // 00000000A368: 7FAA11D5
	v_cvt_i32_f32_e32 v214, v214                               // 00000000A36C: 7FAC11D6
	v_cvt_i32_f32_e32 v215, v215                               // 00000000A370: 7FAE11D7
	v_perm_b32 v197, v213, v212, s53                           // 00000000A374: D1ED00C5 00D7A9D5
	v_perm_b32 v197, v214, v197, s54                           // 00000000A37C: D1ED00C5 00DB8BD6
	v_perm_b32 v197, v215, v197, s55                           // 00000000A384: D1ED00C5 00DF8BD7
	v_mfma_i32_16x16x32_i8 v[168:171], a[208:209], v[224:225], 0// 00000000A38C: D3D700A8 0A03C1D0
	buffer_load_dwordx4 a[80:83], v41, s[24:27], 0 offen       // 00000000A394: E05C1000 80865029
	v_mfma_i32_16x16x32_i8 v[168:171], a[210:211], v[226:227], v[168:171]// 00000000A39C: D3D700A8 0EA3C5D2
	v_mfma_i32_16x16x32_i8 v[168:171], a[212:213], v[228:229], v[168:171]// 00000000A3A4: D3D700A8 0EA3C9D4
	v_mfma_i32_16x16x32_i8 v[168:171], a[214:215], v[230:231], v[168:171]// 00000000A3AC: D3D700A8 0EA3CDD6
	v_mfma_i32_16x16x32_i8 v[168:171], a[216:217], v[232:233], v[168:171]// 00000000A3B4: D3D700A8 0EA3D1D8
	buffer_load_dwordx4 a[84:87], v41, s[24:27], 0 offen offset:1024// 00000000A3BC: E05C1400 80865429
	v_mfma_i32_16x16x32_i8 v[168:171], a[218:219], v[234:235], v[168:171]// 00000000A3C4: D3D700A8 0EA3D5DA
	v_mfma_i32_16x16x32_i8 v[168:171], a[220:221], v[236:237], v[168:171]// 00000000A3CC: D3D700A8 0EA3D9DC
	v_mfma_i32_16x16x32_i8 v[168:171], a[222:223], v[238:239], v[168:171]// 00000000A3D4: D3D700A8 0EA3DDDE
	v_mul_f32_e32 v216, v22, v216                              // 00000000A3DC: 0BB1B116
	v_mul_f32_e32 v217, v22, v217                              // 00000000A3E0: 0BB3B316
	v_mul_f32_e32 v218, v22, v218                              // 00000000A3E4: 0BB5B516
	v_mul_f32_e32 v219, v22, v219                              // 00000000A3E8: 0BB7B716
	v_cvt_i32_f32_e32 v216, v216                               // 00000000A3EC: 7FB011D8
	v_cvt_i32_f32_e32 v217, v217                               // 00000000A3F0: 7FB211D9
	v_cvt_i32_f32_e32 v218, v218                               // 00000000A3F4: 7FB411DA
	v_cvt_i32_f32_e32 v219, v219                               // 00000000A3F8: 7FB611DB
	v_perm_b32 v198, v217, v216, s53                           // 00000000A3FC: D1ED00C6 00D7B1D9
	v_perm_b32 v198, v218, v198, s54                           // 00000000A404: D1ED00C6 00DB8DDA
	v_perm_b32 v198, v219, v198, s55                           // 00000000A40C: D1ED00C6 00DF8DDB
	v_mul_f32_e32 v220, v23, v220                              // 00000000A414: 0BB9B917
	v_mul_f32_e32 v221, v23, v221                              // 00000000A418: 0BBBBB17
	v_mul_f32_e32 v222, v23, v222                              // 00000000A41C: 0BBDBD17
	v_mul_f32_e32 v223, v23, v223                              // 00000000A420: 0BBFBF17
	v_cvt_i32_f32_e32 v220, v220                               // 00000000A424: 7FB811DC
	v_cvt_i32_f32_e32 v221, v221                               // 00000000A428: 7FBA11DD
	v_cvt_i32_f32_e32 v222, v222                               // 00000000A42C: 7FBC11DE
	v_cvt_i32_f32_e32 v223, v223                               // 00000000A430: 7FBE11DF
	v_perm_b32 v199, v221, v220, s53                           // 00000000A434: D1ED00C7 00D7B9DD
	v_perm_b32 v199, v222, v199, s54                           // 00000000A43C: D1ED00C7 00DB8FDE
	v_perm_b32 v199, v223, v199, s55                           // 00000000A444: D1ED00C7 00DF8FDF
	v_mfma_i32_16x16x32_i8 v[172:175], a[208:209], v[240:241], 0// 00000000A44C: D3D700AC 0A03E1D0
	buffer_load_dwordx4 a[88:91], v41, s[24:27], 0 offen offset:2048// 00000000A454: E05C1800 80865829
	v_mfma_i32_16x16x32_i8 v[172:175], a[210:211], v[242:243], v[172:175]// 00000000A45C: D3D700AC 0EB3E5D2
	ds_write_b32 v12, v196 offset:4096                         // 00000000A464: D81A1000 0000C40C
	v_mfma_i32_16x16x32_i8 v[172:175], a[212:213], v[244:245], v[172:175]// 00000000A46C: D3D700AC 0EB3E9D4
	v_mfma_i32_16x16x32_i8 v[172:175], a[214:215], v[246:247], v[172:175]// 00000000A474: D3D700AC 0EB3EDD6
	ds_write_b32 v12, v197 offset:8192                         // 00000000A47C: D81A2000 0000C50C
	v_mfma_i32_16x16x32_i8 v[172:175], a[216:217], v[248:249], v[172:175]// 00000000A484: D3D700AC 0EB3F1D8
	buffer_load_dwordx4 a[92:95], v41, s[24:27], 0 offen offset:3072// 00000000A48C: E05C1C00 80865C29
	v_mfma_i32_16x16x32_i8 v[172:175], a[218:219], v[250:251], v[172:175]// 00000000A494: D3D700AC 0EB3F5DA
	ds_write_b32 v12, v198 offset:5120                         // 00000000A49C: D81A1400 0000C60C
	v_mfma_i32_16x16x32_i8 v[172:175], a[220:221], v[252:253], v[172:175]// 00000000A4A4: D3D700AC 0EB3F9DC
	v_mfma_i32_16x16x32_i8 v[172:175], a[222:223], v[254:255], v[172:175]// 00000000A4AC: D3D700AC 0EB3FDDE
	ds_write_b32 v12, v199 offset:9216                         // 00000000A4B4: D81A2400 0000C70C
	v_cvt_f32_i32_e32 v144, v144                               // 00000000A4BC: 7F200B90
	v_cvt_f32_i32_e32 v145, v145                               // 00000000A4C0: 7F220B91
	v_cvt_f32_i32_e32 v146, v146                               // 00000000A4C4: 7F240B92
	v_cvt_f32_i32_e32 v147, v147                               // 00000000A4C8: 7F260B93
	v_cvt_f32_i32_e32 v148, v148                               // 00000000A4CC: 7F280B94
	v_cvt_f32_i32_e32 v149, v149                               // 00000000A4D0: 7F2A0B95
	v_cvt_f32_i32_e32 v150, v150                               // 00000000A4D4: 7F2C0B96
	v_cvt_f32_i32_e32 v151, v151                               // 00000000A4D8: 7F2E0B97
	v_cvt_f32_i32_e32 v152, v152                               // 00000000A4DC: 7F300B98
	v_cvt_f32_i32_e32 v153, v153                               // 00000000A4E0: 7F320B99
	v_cvt_f32_i32_e32 v154, v154                               // 00000000A4E4: 7F340B9A
	v_cvt_f32_i32_e32 v155, v155                               // 00000000A4E8: 7F360B9B
	v_cvt_f32_i32_e32 v156, v156                               // 00000000A4EC: 7F380B9C
	v_cvt_f32_i32_e32 v157, v157                               // 00000000A4F0: 7F3A0B9D
	v_cvt_f32_i32_e32 v158, v158                               // 00000000A4F4: 7F3C0B9E
	v_cvt_f32_i32_e32 v159, v159                               // 00000000A4F8: 7F3E0B9F
	s_waitcnt lgkmcnt(0)                                       // 00000000A4FC: BF8CC07F
	s_barrier                                                  // 00000000A500: BF8A0000
	s_waitcnt vmcnt(40)                                        // 00000000A504: BF8C8F78
	v_mfma_i32_16x16x32_i8 v[176:179], a[224:225], v[224:225], 0// 00000000A508: D3D700B0 0A03C1E0
	buffer_load_dwordx4 a[96:99], v42, s[24:27], 0 offen       // 00000000A510: E05C1000 8086602A
	v_mfma_i32_16x16x32_i8 v[176:179], a[226:227], v[226:227], v[176:179]// 00000000A518: D3D700B0 0EC3C5E2
	ds_read_b64 v[192:193], v13 offset:2048                    // 00000000A520: D8EC0800 C000000D
	ds_read_b64 v[194:195], v13 offset:2176                    // 00000000A528: D8EC0880 C200000D
	v_mfma_i32_16x16x32_i8 v[176:179], a[228:229], v[228:229], v[176:179]// 00000000A530: D3D700B0 0EC3C9E4
	v_mfma_i32_16x16x32_i8 v[176:179], a[230:231], v[230:231], v[176:179]// 00000000A538: D3D700B0 0EC3CDE6
	ds_read_b64 v[196:197], v13 offset:3072                    // 00000000A540: D8EC0C00 C400000D
	ds_read_b64 v[198:199], v13 offset:3200                    // 00000000A548: D8EC0C80 C600000D
	v_mfma_i32_16x16x32_i8 v[176:179], a[232:233], v[232:233], v[176:179]// 00000000A550: D3D700B0 0EC3D1E8
	buffer_load_dwordx4 a[100:103], v42, s[24:27], 0 offen offset:1024// 00000000A558: E05C1400 8086642A
	v_mfma_i32_16x16x32_i8 v[176:179], a[234:235], v[234:235], v[176:179]// 00000000A560: D3D700B0 0EC3D5EA
	ds_read_b64 v[200:201], v13 offset:4096                    // 00000000A568: D8EC1000 C800000D
	ds_read_b64 v[202:203], v13 offset:4224                    // 00000000A570: D8EC1080 CA00000D
	v_mfma_i32_16x16x32_i8 v[176:179], a[236:237], v[236:237], v[176:179]// 00000000A578: D3D700B0 0EC3D9EC
	v_mfma_i32_16x16x32_i8 v[176:179], a[238:239], v[238:239], v[176:179]// 00000000A580: D3D700B0 0EC3DDEE
	ds_read_b64 v[204:205], v13 offset:5120                    // 00000000A588: D8EC1400 CC00000D
	ds_read_b64 v[206:207], v13 offset:5248                    // 00000000A590: D8EC1480 CE00000D
	v_cvt_f32_i32_e32 v160, v160                               // 00000000A598: 7F400BA0
	v_cvt_f32_i32_e32 v161, v161                               // 00000000A59C: 7F420BA1
	v_cvt_f32_i32_e32 v162, v162                               // 00000000A5A0: 7F440BA2
	v_cvt_f32_i32_e32 v163, v163                               // 00000000A5A4: 7F460BA3
	v_cvt_f32_i32_e32 v164, v164                               // 00000000A5A8: 7F480BA4
	v_cvt_f32_i32_e32 v165, v165                               // 00000000A5AC: 7F4A0BA5
	v_cvt_f32_i32_e32 v166, v166                               // 00000000A5B0: 7F4C0BA6
	v_cvt_f32_i32_e32 v167, v167                               // 00000000A5B4: 7F4E0BA7
	v_pk_fma_f32 v[80:81], v[26:27], v[144:145], v[80:81]      // 00000000A5B8: D3B04050 1D43211A
	v_pk_fma_f32 v[82:83], v[26:27], v[146:147], v[82:83]      // 00000000A5C0: D3B04052 1D4B251A
	v_pk_fma_f32 v[84:85], v[8:9], v[148:149], v[84:85]        // 00000000A5C8: D3B04054 1D532908
	v_pk_fma_f32 v[86:87], v[8:9], v[150:151], v[86:87]        // 00000000A5D0: D3B04056 1D5B2D08
	v_pk_fma_f32 v[88:89], v[26:27], v[152:153], v[88:89]      // 00000000A5D8: D3B04058 1D63311A
	v_pk_fma_f32 v[90:91], v[26:27], v[154:155], v[90:91]      // 00000000A5E0: D3B0405A 1D6B351A
	v_pk_fma_f32 v[92:93], v[8:9], v[156:157], v[92:93]        // 00000000A5E8: D3B0405C 1D733908
	v_pk_fma_f32 v[94:95], v[8:9], v[158:159], v[94:95]        // 00000000A5F0: D3B0405E 1D7B3D08
	v_mfma_i32_16x16x32_i8 v[180:183], a[224:225], v[240:241], 0// 00000000A5F8: D3D700B4 0A03E1E0
	buffer_load_dwordx4 a[104:107], v42, s[24:27], 0 offen offset:2048// 00000000A600: E05C1800 8086682A
	v_mfma_i32_16x16x32_i8 v[180:183], a[226:227], v[242:243], v[180:183]// 00000000A608: D3D700B4 0ED3E5E2
	ds_read_b64 v[208:209], v13 offset:6144                    // 00000000A610: D8EC1800 D000000D
	ds_read_b64 v[210:211], v13 offset:6272                    // 00000000A618: D8EC1880 D200000D
	v_mfma_i32_16x16x32_i8 v[180:183], a[228:229], v[244:245], v[180:183]// 00000000A620: D3D700B4 0ED3E9E4
	v_mfma_i32_16x16x32_i8 v[180:183], a[230:231], v[246:247], v[180:183]// 00000000A628: D3D700B4 0ED3EDE6
	ds_read_b64 v[212:213], v13 offset:7168                    // 00000000A630: D8EC1C00 D400000D
	ds_read_b64 v[214:215], v13 offset:7296                    // 00000000A638: D8EC1C80 D600000D
	v_mfma_i32_16x16x32_i8 v[180:183], a[232:233], v[248:249], v[180:183]// 00000000A640: D3D700B4 0ED3F1E8
	buffer_load_dwordx4 a[108:111], v42, s[24:27], 0 offen offset:3072// 00000000A648: E05C1C00 80866C2A
	v_mfma_i32_16x16x32_i8 v[180:183], a[234:235], v[250:251], v[180:183]// 00000000A650: D3D700B4 0ED3F5EA
	ds_read_b64 v[216:217], v13 offset:8192                    // 00000000A658: D8EC2000 D800000D
	ds_read_b64 v[218:219], v13 offset:8320                    // 00000000A660: D8EC2080 DA00000D
	v_mfma_i32_16x16x32_i8 v[180:183], a[236:237], v[252:253], v[180:183]// 00000000A668: D3D700B4 0ED3F9EC
	v_mfma_i32_16x16x32_i8 v[180:183], a[238:239], v[254:255], v[180:183]// 00000000A670: D3D700B4 0ED3FDEE
	ds_read_b64 v[220:221], v13 offset:9216                    // 00000000A678: D8EC2400 DC00000D
	ds_read_b64 v[222:223], v13 offset:9344                    // 00000000A680: D8EC2480 DE00000D
	v_cvt_f32_i32_e32 v168, v168                               // 00000000A688: 7F500BA8
	v_cvt_f32_i32_e32 v169, v169                               // 00000000A68C: 7F520BA9
	v_cvt_f32_i32_e32 v170, v170                               // 00000000A690: 7F540BAA
	v_cvt_f32_i32_e32 v171, v171                               // 00000000A694: 7F560BAB
	v_cvt_f32_i32_e32 v172, v172                               // 00000000A698: 7F580BAC
	v_cvt_f32_i32_e32 v173, v173                               // 00000000A69C: 7F5A0BAD
	v_cvt_f32_i32_e32 v174, v174                               // 00000000A6A0: 7F5C0BAE
	v_cvt_f32_i32_e32 v175, v175                               // 00000000A6A4: 7F5E0BAF
	v_pk_fma_f32 v[96:97], v[26:27], v[160:161], v[96:97]      // 00000000A6A8: D3B04060 1D83411A
	v_pk_fma_f32 v[98:99], v[26:27], v[162:163], v[98:99]      // 00000000A6B0: D3B04062 1D8B451A
	v_pk_fma_f32 v[100:101], v[8:9], v[164:165], v[100:101]    // 00000000A6B8: D3B04064 1D934908
	v_pk_fma_f32 v[102:103], v[8:9], v[166:167], v[102:103]    // 00000000A6C0: D3B04066 1D9B4D08
	v_pk_fma_f32 v[104:105], v[26:27], v[168:169], v[104:105]  // 00000000A6C8: D3B04068 1DA3511A
	v_pk_fma_f32 v[106:107], v[26:27], v[170:171], v[106:107]  // 00000000A6D0: D3B0406A 1DAB551A
	v_pk_fma_f32 v[108:109], v[8:9], v[172:173], v[108:109]    // 00000000A6D8: D3B0406C 1DB35908
	v_pk_fma_f32 v[110:111], v[8:9], v[174:175], v[110:111]    // 00000000A6E0: D3B0406E 1DBB5D08
	v_mfma_i32_16x16x32_i8 v[184:187], a[240:241], v[224:225], 0// 00000000A6E8: D3D700B8 0A03C1F0
	buffer_load_dwordx4 a[112:115], v43, s[24:27], 0 offen     // 00000000A6F0: E05C1000 8086702B
	v_mfma_i32_16x16x32_i8 v[184:187], a[242:243], v[226:227], v[184:187]// 00000000A6F8: D3D700B8 0EE3C5F2
	v_mfma_i32_16x16x32_i8 v[184:187], a[244:245], v[228:229], v[184:187]// 00000000A700: D3D700B8 0EE3C9F4
	v_mfma_i32_16x16x32_i8 v[184:187], a[246:247], v[230:231], v[184:187]// 00000000A708: D3D700B8 0EE3CDF6
	v_mfma_i32_16x16x32_i8 v[184:187], a[248:249], v[232:233], v[184:187]// 00000000A710: D3D700B8 0EE3D1F8
	buffer_load_dwordx4 a[116:119], v43, s[24:27], 0 offen offset:1024// 00000000A718: E05C1400 8086742B
	v_mfma_i32_16x16x32_i8 v[184:187], a[250:251], v[234:235], v[184:187]// 00000000A720: D3D700B8 0EE3D5FA
	v_mfma_i32_16x16x32_i8 v[184:187], a[252:253], v[236:237], v[184:187]// 00000000A728: D3D700B8 0EE3D9FC
	v_mfma_i32_16x16x32_i8 v[184:187], a[254:255], v[238:239], v[184:187]// 00000000A730: D3D700B8 0EE3DDFE
	v_mfma_i32_16x16x32_i8 v[188:191], a[240:241], v[240:241], 0// 00000000A738: D3D700BC 0A03E1F0
	buffer_load_dwordx4 a[120:123], v43, s[24:27], 0 offen offset:2048// 00000000A740: E05C1800 8086782B
	v_mfma_i32_16x16x32_i8 v[188:191], a[242:243], v[242:243], v[188:191]// 00000000A748: D3D700BC 0EF3E5F2
	v_mfma_i32_16x16x32_i8 v[188:191], a[244:245], v[244:245], v[188:191]// 00000000A750: D3D700BC 0EF3E9F4
	v_mfma_i32_16x16x32_i8 v[188:191], a[246:247], v[246:247], v[188:191]// 00000000A758: D3D700BC 0EF3EDF6
	v_mfma_i32_16x16x32_i8 v[188:191], a[248:249], v[248:249], v[188:191]// 00000000A760: D3D700BC 0EF3F1F8
	buffer_load_dwordx4 a[124:127], v43, s[24:27], 0 offen offset:3072// 00000000A768: E05C1C00 80867C2B
	v_mfma_i32_16x16x32_i8 v[188:191], a[250:251], v[250:251], v[188:191]// 00000000A770: D3D700BC 0EF3F5FA
	v_mfma_i32_16x16x32_i8 v[188:191], a[252:253], v[252:253], v[188:191]// 00000000A778: D3D700BC 0EF3F9FC
	s_add_u32 s24, s58, s24                                    // 00000000A780: 8018183A
	s_addc_u32 s25, 0, s25                                     // 00000000A784: 82191980
	s_add_u32 s28, s84, s28                                    // 00000000A788: 801C1C54
	s_addc_u32 s29, 0, s29                                     // 00000000A78C: 821D1D80
	v_mfma_i32_16x16x32_i8 v[188:191], a[254:255], v[254:255], v[188:191]// 00000000A790: D3D700BC 0EF3FDFE
	v_cvt_f32_i32_e32 v176, v176                               // 00000000A798: 7F600BB0
	v_cvt_f32_i32_e32 v177, v177                               // 00000000A79C: 7F620BB1
	v_cvt_f32_i32_e32 v178, v178                               // 00000000A7A0: 7F640BB2
	v_cvt_f32_i32_e32 v179, v179                               // 00000000A7A4: 7F660BB3
	v_cvt_f32_i32_e32 v180, v180                               // 00000000A7A8: 7F680BB4
	v_cvt_f32_i32_e32 v181, v181                               // 00000000A7AC: 7F6A0BB5
	v_cvt_f32_i32_e32 v182, v182                               // 00000000A7B0: 7F6C0BB6
	v_cvt_f32_i32_e32 v183, v183                               // 00000000A7B4: 7F6E0BB7
	v_cvt_f32_i32_e32 v184, v184                               // 00000000A7B8: 7F700BB8
	v_cvt_f32_i32_e32 v185, v185                               // 00000000A7BC: 7F720BB9
	v_cvt_f32_i32_e32 v186, v186                               // 00000000A7C0: 7F740BBA
	v_cvt_f32_i32_e32 v187, v187                               // 00000000A7C4: 7F760BBB
	v_cvt_f32_i32_e32 v188, v188                               // 00000000A7C8: 7F780BBC
	v_cvt_f32_i32_e32 v189, v189                               // 00000000A7CC: 7F7A0BBD
	v_cvt_f32_i32_e32 v190, v190                               // 00000000A7D0: 7F7C0BBE
	v_cvt_f32_i32_e32 v191, v191                               // 00000000A7D4: 7F7E0BBF
	v_pk_fma_f32 v[112:113], v[26:27], v[176:177], v[112:113]  // 00000000A7D8: D3B04070 1DC3611A
	v_pk_fma_f32 v[114:115], v[26:27], v[178:179], v[114:115]  // 00000000A7E0: D3B04072 1DCB651A
	v_pk_fma_f32 v[116:117], v[8:9], v[180:181], v[116:117]    // 00000000A7E8: D3B04074 1DD36908
	v_pk_fma_f32 v[118:119], v[8:9], v[182:183], v[118:119]    // 00000000A7F0: D3B04076 1DDB6D08
	v_pk_fma_f32 v[120:121], v[26:27], v[184:185], v[120:121]  // 00000000A7F8: D3B04078 1DE3711A
	v_pk_fma_f32 v[122:123], v[26:27], v[186:187], v[122:123]  // 00000000A800: D3B0407A 1DEB751A
	v_pk_fma_f32 v[124:125], v[8:9], v[188:189], v[124:125]    // 00000000A808: D3B0407C 1DF37908
	v_pk_fma_f32 v[126:127], v[8:9], v[190:191], v[126:127]    // 00000000A810: D3B0407E 1DFB7D08
	s_addk_i32 s80, 0x100                                      // 00000000A818: B7500100
	s_cmp_lt_i32 s80, s81                                      // 00000000A81C: BF045150
	s_cbranch_scc0 label_1F4A                                  // 00000000A820: BF840001
	s_branch label_17FD                                        // 00000000A824: BF82F8B3

000000000000a828 <label_1F4A>:
	s_mov_b32 s20, 0                                           // 00000000A828: BE940080
	s_cmp_lt_u32 s93, s66                                      // 00000000A82C: BF0A425D
	s_cselect_b32 s60, 0, 1                                    // 00000000A830: 853C8180
	s_lshl1_add_u32 s20, s20, s60                              // 00000000A834: 97143C14
	s_cmp_lt_u32 s92, s66                                      // 00000000A838: BF0A425C
	s_cselect_b32 s60, 0, 1                                    // 00000000A83C: 853C8180
	s_lshl1_add_u32 s20, s20, s60                              // 00000000A840: 97143C14
	s_cmp_lt_u32 s91, s66                                      // 00000000A844: BF0A425B
	s_cselect_b32 s60, 0, 1                                    // 00000000A848: 853C8180
	s_lshl1_add_u32 s20, s20, s60                              // 00000000A84C: 97143C14
	s_cmp_lt_u32 s90, s66                                      // 00000000A850: BF0A425A
	s_cselect_b32 s60, 0, 1                                    // 00000000A854: 853C8180
	s_lshl1_add_u32 s20, s20, s60                              // 00000000A858: 97143C14
	s_cmp_lt_u32 s89, s66                                      // 00000000A85C: BF0A4259
	s_cselect_b32 s60, 0, 1                                    // 00000000A860: 853C8180
	s_lshl1_add_u32 s20, s20, s60                              // 00000000A864: 97143C14
	s_cmp_lt_u32 s88, s66                                      // 00000000A868: BF0A4258
	s_cselect_b32 s60, 0, 1                                    // 00000000A86C: 853C8180
	s_lshl1_add_u32 s20, s20, s60                              // 00000000A870: 97143C14
	s_cmp_lt_u32 s87, s66                                      // 00000000A874: BF0A4257
	s_cselect_b32 s60, 0, 1                                    // 00000000A878: 853C8180
	s_lshl1_add_u32 s20, s20, s60                              // 00000000A87C: 97143C14
	s_cmp_lt_u32 s86, s66                                      // 00000000A880: BF0A4256
	s_cselect_b32 s60, 0, 1                                    // 00000000A884: 853C8180
	s_lshl1_add_u32 s20, s20, s60                              // 00000000A888: 97143C14
	v_mov_b32_e32 v60, 0xbfcc4231                              // 00000000A88C: 7E7802FF BFCC4231
	v_mov_b32_e32 v61, 0xbfcc4231                              // 00000000A894: 7E7A02FF BFCC4231
	v_mov_b32_e32 v57, 0xffff0000                              // 00000000A89C: 7E7202FF FFFF0000
	v_mov_b32_e32 v58, 0x7fff0000                              // 00000000A8A4: 7E7402FF 7FFF0000
	v_mov_b32_e32 v59, 0x7fff                                  // 00000000A8AC: 7E7602FF 00007FFF
	s_mul_i32 s60, s5, 16                                      // 00000000A8B4: 923C9005
	s_mul_i32 s60, s60, s70                                    // 00000000A8B8: 923C463C
	v_lshlrev_b32_e32 v48, 4, v0                               // 00000000A8BC: 24600084
	v_add_u32_e32 v48, s60, v48                                // 00000000A8C0: 6860603C
	s_mul_i32 s60, 64, s70                                     // 00000000A8C4: 923C46C0
	v_add_u32_e32 v49, s60, v48                                // 00000000A8C8: 6862603C
	v_add_u32_e32 v50, s60, v49                                // 00000000A8CC: 6864623C
	v_add_u32_e32 v51, s60, v50                                // 00000000A8D0: 6866643C
	v_lshrrev_b32_e32 v44, 4, v0                               // 00000000A8D4: 20580084
	v_mul_i32_i24_e32 v3, 34, v44                              // 00000000A8D8: 0C0658A2
	v_and_b32_e32 v44, 15, v0                                  // 00000000A8DC: 2658008F
	v_mul_i32_i24_e32 v45, 2, v44                              // 00000000A8E0: 0C5A5882
	v_add_u32_e32 v3, v45, v3                                  // 00000000A8E4: 6806072D
	s_mul_i32 s60, s5, 0x88                                    // 00000000A8E8: 923CFF05 00000088
	v_add_u32_e32 v3, s60, v3                                  // 00000000A8F0: 6806063C
	v_lshlrev_b32_e32 v3, 2, v3                                // 00000000A8F4: 24060682
	v_lshrrev_b32_e32 v44, 1, v0                               // 00000000A8F8: 20580081
	v_mul_i32_i24_e32 v4, 34, v44                              // 00000000A8FC: 0C0858A2
	v_and_b32_e32 v45, 1, v0                                   // 00000000A900: 265A0081
	v_add_u32_e32 v4, v45, v4                                  // 00000000A904: 6808092D
	s_mul_i32 s60, s5, 2                                       // 00000000A908: 923C8205
	v_add_u32_e32 v4, s60, v4                                  // 00000000A90C: 6808083C
	v_lshlrev_b32_e32 v4, 2, v4                                // 00000000A910: 24080882
	v_mul_f32_dpp v128, v16, v64 row_newbcast:0 row_mask:0xf bank_mask:0xf// 00000000A914: 0B0080FA FF015010
	v_mul_f32_dpp v129, v16, v65 row_newbcast:1 row_mask:0xf bank_mask:0xf// 00000000A91C: 0B0282FA FF015110
	v_mul_f32_dpp v130, v16, v66 row_newbcast:2 row_mask:0xf bank_mask:0xf// 00000000A924: 0B0484FA FF015210
	v_mul_f32_dpp v131, v16, v67 row_newbcast:3 row_mask:0xf bank_mask:0xf// 00000000A92C: 0B0686FA FF015310
	v_mul_f32_dpp v132, v16, v68 row_newbcast:0 row_mask:0xf bank_mask:0xf// 00000000A934: 0B0888FA FF015010
	v_mul_f32_dpp v133, v16, v69 row_newbcast:1 row_mask:0xf bank_mask:0xf// 00000000A93C: 0B0A8AFA FF015110
	v_mul_f32_dpp v134, v16, v70 row_newbcast:2 row_mask:0xf bank_mask:0xf// 00000000A944: 0B0C8CFA FF015210
	v_mul_f32_dpp v135, v16, v71 row_newbcast:3 row_mask:0xf bank_mask:0xf// 00000000A94C: 0B0E8EFA FF015310
	v_mul_f32_dpp v136, v16, v72 row_newbcast:4 row_mask:0xf bank_mask:0xf// 00000000A954: 0B1090FA FF015410
	v_mul_f32_dpp v137, v16, v73 row_newbcast:5 row_mask:0xf bank_mask:0xf// 00000000A95C: 0B1292FA FF015510
	v_mul_f32_dpp v138, v16, v74 row_newbcast:6 row_mask:0xf bank_mask:0xf// 00000000A964: 0B1494FA FF015610
	v_mul_f32_dpp v139, v16, v75 row_newbcast:7 row_mask:0xf bank_mask:0xf// 00000000A96C: 0B1696FA FF015710
	v_mul_f32_dpp v140, v16, v76 row_newbcast:4 row_mask:0xf bank_mask:0xf// 00000000A974: 0B1898FA FF015410
	v_mul_f32_dpp v141, v16, v77 row_newbcast:5 row_mask:0xf bank_mask:0xf// 00000000A97C: 0B1A9AFA FF015510
	v_mul_f32_dpp v142, v16, v78 row_newbcast:6 row_mask:0xf bank_mask:0xf// 00000000A984: 0B1C9CFA FF015610
	v_mul_f32_dpp v143, v16, v79 row_newbcast:7 row_mask:0xf bank_mask:0xf// 00000000A98C: 0B1E9EFA FF015710
	v_mul_f32_dpp v144, v16, v80 row_newbcast:8 row_mask:0xf bank_mask:0xf// 00000000A994: 0B20A0FA FF015810
	v_mul_f32_dpp v145, v16, v81 row_newbcast:9 row_mask:0xf bank_mask:0xf// 00000000A99C: 0B22A2FA FF015910
	v_mul_f32_dpp v146, v16, v82 row_newbcast:10 row_mask:0xf bank_mask:0xf// 00000000A9A4: 0B24A4FA FF015A10
	v_mul_f32_dpp v147, v16, v83 row_newbcast:11 row_mask:0xf bank_mask:0xf// 00000000A9AC: 0B26A6FA FF015B10
	v_mul_f32_dpp v148, v16, v84 row_newbcast:8 row_mask:0xf bank_mask:0xf// 00000000A9B4: 0B28A8FA FF015810
	v_mul_f32_dpp v149, v16, v85 row_newbcast:9 row_mask:0xf bank_mask:0xf// 00000000A9BC: 0B2AAAFA FF015910
	v_mul_f32_dpp v150, v16, v86 row_newbcast:10 row_mask:0xf bank_mask:0xf// 00000000A9C4: 0B2CACFA FF015A10
	v_mul_f32_dpp v151, v16, v87 row_newbcast:11 row_mask:0xf bank_mask:0xf// 00000000A9CC: 0B2EAEFA FF015B10
	v_mul_f32_dpp v152, v16, v88 row_newbcast:12 row_mask:0xf bank_mask:0xf// 00000000A9D4: 0B30B0FA FF015C10
	v_mul_f32_dpp v153, v16, v89 row_newbcast:13 row_mask:0xf bank_mask:0xf// 00000000A9DC: 0B32B2FA FF015D10
	v_mul_f32_dpp v154, v16, v90 row_newbcast:14 row_mask:0xf bank_mask:0xf// 00000000A9E4: 0B34B4FA FF015E10
	v_mul_f32_dpp v155, v16, v91 row_newbcast:15 row_mask:0xf bank_mask:0xf// 00000000A9EC: 0B36B6FA FF015F10
	v_mul_f32_dpp v156, v16, v92 row_newbcast:12 row_mask:0xf bank_mask:0xf// 00000000A9F4: 0B38B8FA FF015C10
	v_mul_f32_dpp v157, v16, v93 row_newbcast:13 row_mask:0xf bank_mask:0xf// 00000000A9FC: 0B3ABAFA FF015D10
	v_mul_f32_dpp v158, v16, v94 row_newbcast:14 row_mask:0xf bank_mask:0xf// 00000000AA04: 0B3CBCFA FF015E10
	v_mul_f32_dpp v159, v16, v95 row_newbcast:15 row_mask:0xf bank_mask:0xf// 00000000AA0C: 0B3EBEFA FF015F10
	v_mul_f32_dpp v160, v17, v96 row_newbcast:0 row_mask:0xf bank_mask:0xf// 00000000AA14: 0B40C0FA FF015011
	v_mul_f32_dpp v161, v17, v97 row_newbcast:1 row_mask:0xf bank_mask:0xf// 00000000AA1C: 0B42C2FA FF015111
	v_mul_f32_dpp v162, v17, v98 row_newbcast:2 row_mask:0xf bank_mask:0xf// 00000000AA24: 0B44C4FA FF015211
	v_mul_f32_dpp v163, v17, v99 row_newbcast:3 row_mask:0xf bank_mask:0xf// 00000000AA2C: 0B46C6FA FF015311
	v_mul_f32_dpp v164, v17, v100 row_newbcast:0 row_mask:0xf bank_mask:0xf// 00000000AA34: 0B48C8FA FF015011
	v_mul_f32_dpp v165, v17, v101 row_newbcast:1 row_mask:0xf bank_mask:0xf// 00000000AA3C: 0B4ACAFA FF015111
	v_mul_f32_dpp v166, v17, v102 row_newbcast:2 row_mask:0xf bank_mask:0xf// 00000000AA44: 0B4CCCFA FF015211
	v_mul_f32_dpp v167, v17, v103 row_newbcast:3 row_mask:0xf bank_mask:0xf// 00000000AA4C: 0B4ECEFA FF015311
	v_mul_f32_dpp v168, v17, v104 row_newbcast:4 row_mask:0xf bank_mask:0xf// 00000000AA54: 0B50D0FA FF015411
	v_mul_f32_dpp v169, v17, v105 row_newbcast:5 row_mask:0xf bank_mask:0xf// 00000000AA5C: 0B52D2FA FF015511
	v_mul_f32_dpp v170, v17, v106 row_newbcast:6 row_mask:0xf bank_mask:0xf// 00000000AA64: 0B54D4FA FF015611
	v_mul_f32_dpp v171, v17, v107 row_newbcast:7 row_mask:0xf bank_mask:0xf// 00000000AA6C: 0B56D6FA FF015711
	v_mul_f32_dpp v172, v17, v108 row_newbcast:4 row_mask:0xf bank_mask:0xf// 00000000AA74: 0B58D8FA FF015411
	v_mul_f32_dpp v173, v17, v109 row_newbcast:5 row_mask:0xf bank_mask:0xf// 00000000AA7C: 0B5ADAFA FF015511
	v_mul_f32_dpp v174, v17, v110 row_newbcast:6 row_mask:0xf bank_mask:0xf// 00000000AA84: 0B5CDCFA FF015611
	v_mul_f32_dpp v175, v17, v111 row_newbcast:7 row_mask:0xf bank_mask:0xf// 00000000AA8C: 0B5EDEFA FF015711
	v_mul_f32_dpp v176, v17, v112 row_newbcast:8 row_mask:0xf bank_mask:0xf// 00000000AA94: 0B60E0FA FF015811
	v_mul_f32_dpp v177, v17, v113 row_newbcast:9 row_mask:0xf bank_mask:0xf// 00000000AA9C: 0B62E2FA FF015911
	v_mul_f32_dpp v178, v17, v114 row_newbcast:10 row_mask:0xf bank_mask:0xf// 00000000AAA4: 0B64E4FA FF015A11
	v_mul_f32_dpp v179, v17, v115 row_newbcast:11 row_mask:0xf bank_mask:0xf// 00000000AAAC: 0B66E6FA FF015B11
	v_mul_f32_dpp v180, v17, v116 row_newbcast:8 row_mask:0xf bank_mask:0xf// 00000000AAB4: 0B68E8FA FF015811
	v_mul_f32_dpp v181, v17, v117 row_newbcast:9 row_mask:0xf bank_mask:0xf// 00000000AABC: 0B6AEAFA FF015911
	v_mul_f32_dpp v182, v17, v118 row_newbcast:10 row_mask:0xf bank_mask:0xf// 00000000AAC4: 0B6CECFA FF015A11
	v_mul_f32_dpp v183, v17, v119 row_newbcast:11 row_mask:0xf bank_mask:0xf// 00000000AACC: 0B6EEEFA FF015B11
	v_mul_f32_dpp v184, v17, v120 row_newbcast:12 row_mask:0xf bank_mask:0xf// 00000000AAD4: 0B70F0FA FF015C11
	v_mul_f32_dpp v185, v17, v121 row_newbcast:13 row_mask:0xf bank_mask:0xf// 00000000AADC: 0B72F2FA FF015D11
	v_mul_f32_dpp v186, v17, v122 row_newbcast:14 row_mask:0xf bank_mask:0xf// 00000000AAE4: 0B74F4FA FF015E11
	v_mul_f32_dpp v187, v17, v123 row_newbcast:15 row_mask:0xf bank_mask:0xf// 00000000AAEC: 0B76F6FA FF015F11
	v_mul_f32_dpp v188, v17, v124 row_newbcast:12 row_mask:0xf bank_mask:0xf// 00000000AAF4: 0B78F8FA FF015C11
	v_mul_f32_dpp v189, v17, v125 row_newbcast:13 row_mask:0xf bank_mask:0xf// 00000000AAFC: 0B7AFAFA FF015D11
	v_mul_f32_dpp v190, v17, v126 row_newbcast:14 row_mask:0xf bank_mask:0xf// 00000000AB04: 0B7CFCFA FF015E11
	v_mul_f32_dpp v191, v17, v127 row_newbcast:15 row_mask:0xf bank_mask:0xf// 00000000AB0C: 0B7EFEFA FF015F11
	s_waitcnt vmcnt(24)                                        // 00000000AB14: BF8C4F78
	buffer_load_dwordx4 a[0:3], v48, s[12:15], 0 offen         // 00000000AB18: E05C1000 80830030
	v_pk_mul_f32 v[44:45], v[128:129], v[128:129]              // 00000000AB20: D3B1402C 18030180
	v_pk_mul_f32 v[46:47], v[130:131], v[130:131]              // 00000000AB28: D3B1402E 18030582
	v_pk_fma_f32 v[44:45], v[44:45], s[82:83], v[60:61]        // 00000000AB30: D3B0402C 1CF0A52C
	v_pk_fma_f32 v[46:47], v[46:47], s[82:83], v[60:61]        // 00000000AB38: D3B0402E 1CF0A52E
	v_pk_mul_f32 v[44:45], v[44:45], v[128:129]                // 00000000AB40: D3B1402C 1803012C
	v_pk_mul_f32 v[46:47], v[46:47], v[130:131]                // 00000000AB48: D3B1402E 1803052E
	v_pk_mul_f32 v[44:45], v[44:45], s[6:7]                    // 00000000AB50: D3B1402C 18000D2C
	v_pk_mul_f32 v[46:47], v[46:47], s[6:7]                    // 00000000AB58: D3B1402E 18000D2E
	v_exp_f32_e32 v44, v44                                     // 00000000AB60: 7E58412C
	v_exp_f32_e32 v45, v45                                     // 00000000AB64: 7E5A412D
	v_exp_f32_e32 v46, v46                                     // 00000000AB68: 7E5C412E
	v_exp_f32_e32 v47, v47                                     // 00000000AB6C: 7E5E412F
	buffer_load_dwordx4 a[4:7], v48, s[12:15], 0 offen offset:1024// 00000000AB70: E05C1400 80830430
	v_add_f32_e64 v44, v44, 1.0                                // 00000000AB78: D101002C 0001E52C
	v_add_f32_e64 v45, v45, 1.0                                // 00000000AB80: D101002D 0001E52D
	v_add_f32_e64 v46, v46, 1.0                                // 00000000AB88: D101002E 0001E52E
	v_add_f32_e64 v47, v47, 1.0                                // 00000000AB90: D101002F 0001E52F
	v_rcp_f32_e32 v44, v44                                     // 00000000AB98: 7E58452C
	v_rcp_f32_e32 v45, v45                                     // 00000000AB9C: 7E5A452D
	v_rcp_f32_e32 v46, v46                                     // 00000000ABA0: 7E5C452E
	v_rcp_f32_e32 v47, v47                                     // 00000000ABA4: 7E5E452F
	v_pk_mul_f32 v[128:129], v[128:129], v[44:45]              // 00000000ABA8: D3B14080 18025980
	v_pk_mul_f32 v[130:131], v[130:131], v[46:47]              // 00000000ABB0: D3B14082 18025D82
	buffer_load_dwordx4 a[8:11], v48, s[12:15], 0 offen offset:2048// 00000000ABB8: E05C1800 80830830
	v_pk_mul_f32 v[44:45], v[132:133], v[132:133]              // 00000000ABC0: D3B1402C 18030984
	v_pk_mul_f32 v[46:47], v[134:135], v[134:135]              // 00000000ABC8: D3B1402E 18030D86
	v_pk_fma_f32 v[44:45], v[44:45], s[82:83], v[60:61]        // 00000000ABD0: D3B0402C 1CF0A52C
	v_pk_fma_f32 v[46:47], v[46:47], s[82:83], v[60:61]        // 00000000ABD8: D3B0402E 1CF0A52E
	v_pk_mul_f32 v[44:45], v[44:45], v[132:133]                // 00000000ABE0: D3B1402C 1803092C
	v_pk_mul_f32 v[46:47], v[46:47], v[134:135]                // 00000000ABE8: D3B1402E 18030D2E
	v_pk_mul_f32 v[44:45], v[44:45], s[6:7]                    // 00000000ABF0: D3B1402C 18000D2C
	v_pk_mul_f32 v[46:47], v[46:47], s[6:7]                    // 00000000ABF8: D3B1402E 18000D2E
	v_exp_f32_e32 v44, v44                                     // 00000000AC00: 7E58412C
	v_exp_f32_e32 v45, v45                                     // 00000000AC04: 7E5A412D
	v_exp_f32_e32 v46, v46                                     // 00000000AC08: 7E5C412E
	v_exp_f32_e32 v47, v47                                     // 00000000AC0C: 7E5E412F
	buffer_load_dwordx4 a[12:15], v48, s[12:15], 0 offen offset:3072// 00000000AC10: E05C1C00 80830C30
	v_add_f32_e64 v44, v44, 1.0                                // 00000000AC18: D101002C 0001E52C
	v_add_f32_e64 v45, v45, 1.0                                // 00000000AC20: D101002D 0001E52D
	v_add_f32_e64 v46, v46, 1.0                                // 00000000AC28: D101002E 0001E52E
	v_add_f32_e64 v47, v47, 1.0                                // 00000000AC30: D101002F 0001E52F
	v_rcp_f32_e32 v44, v44                                     // 00000000AC38: 7E58452C
	v_rcp_f32_e32 v45, v45                                     // 00000000AC3C: 7E5A452D
	v_rcp_f32_e32 v46, v46                                     // 00000000AC40: 7E5C452E
	v_rcp_f32_e32 v47, v47                                     // 00000000AC44: 7E5E452F
	v_pk_mul_f32 v[132:133], v[132:133], v[44:45]              // 00000000AC48: D3B14084 18025984
	v_pk_mul_f32 v[134:135], v[134:135], v[46:47]              // 00000000AC50: D3B14086 18025D86
	buffer_load_dwordx4 a[16:19], v49, s[12:15], 0 offen       // 00000000AC58: E05C1000 80831031
	v_pk_mul_f32 v[44:45], v[136:137], v[136:137]              // 00000000AC60: D3B1402C 18031188
	v_pk_mul_f32 v[46:47], v[138:139], v[138:139]              // 00000000AC68: D3B1402E 1803158A
	v_pk_fma_f32 v[44:45], v[44:45], s[82:83], v[60:61]        // 00000000AC70: D3B0402C 1CF0A52C
	v_pk_fma_f32 v[46:47], v[46:47], s[82:83], v[60:61]        // 00000000AC78: D3B0402E 1CF0A52E
	v_pk_mul_f32 v[44:45], v[44:45], v[136:137]                // 00000000AC80: D3B1402C 1803112C
	v_pk_mul_f32 v[46:47], v[46:47], v[138:139]                // 00000000AC88: D3B1402E 1803152E
	v_pk_mul_f32 v[44:45], v[44:45], s[6:7]                    // 00000000AC90: D3B1402C 18000D2C
	v_pk_mul_f32 v[46:47], v[46:47], s[6:7]                    // 00000000AC98: D3B1402E 18000D2E
	v_exp_f32_e32 v44, v44                                     // 00000000ACA0: 7E58412C
	v_exp_f32_e32 v45, v45                                     // 00000000ACA4: 7E5A412D
	v_exp_f32_e32 v46, v46                                     // 00000000ACA8: 7E5C412E
	v_exp_f32_e32 v47, v47                                     // 00000000ACAC: 7E5E412F
	buffer_load_dwordx4 a[20:23], v49, s[12:15], 0 offen offset:1024// 00000000ACB0: E05C1400 80831431
	v_add_f32_e64 v44, v44, 1.0                                // 00000000ACB8: D101002C 0001E52C
	v_add_f32_e64 v45, v45, 1.0                                // 00000000ACC0: D101002D 0001E52D
	v_add_f32_e64 v46, v46, 1.0                                // 00000000ACC8: D101002E 0001E52E
	v_add_f32_e64 v47, v47, 1.0                                // 00000000ACD0: D101002F 0001E52F
	v_rcp_f32_e32 v44, v44                                     // 00000000ACD8: 7E58452C
	v_rcp_f32_e32 v45, v45                                     // 00000000ACDC: 7E5A452D
	v_rcp_f32_e32 v46, v46                                     // 00000000ACE0: 7E5C452E
	v_rcp_f32_e32 v47, v47                                     // 00000000ACE4: 7E5E452F
	v_pk_mul_f32 v[136:137], v[136:137], v[44:45]              // 00000000ACE8: D3B14088 18025988
	v_pk_mul_f32 v[138:139], v[138:139], v[46:47]              // 00000000ACF0: D3B1408A 18025D8A
	buffer_load_dwordx4 a[24:27], v49, s[12:15], 0 offen offset:2048// 00000000ACF8: E05C1800 80831831
	v_pk_mul_f32 v[44:45], v[140:141], v[140:141]              // 00000000AD00: D3B1402C 1803198C
	v_pk_mul_f32 v[46:47], v[142:143], v[142:143]              // 00000000AD08: D3B1402E 18031D8E
	v_pk_fma_f32 v[44:45], v[44:45], s[82:83], v[60:61]        // 00000000AD10: D3B0402C 1CF0A52C
	v_pk_fma_f32 v[46:47], v[46:47], s[82:83], v[60:61]        // 00000000AD18: D3B0402E 1CF0A52E
	v_pk_mul_f32 v[44:45], v[44:45], v[140:141]                // 00000000AD20: D3B1402C 1803192C
	v_pk_mul_f32 v[46:47], v[46:47], v[142:143]                // 00000000AD28: D3B1402E 18031D2E
	v_pk_mul_f32 v[44:45], v[44:45], s[6:7]                    // 00000000AD30: D3B1402C 18000D2C
	v_pk_mul_f32 v[46:47], v[46:47], s[6:7]                    // 00000000AD38: D3B1402E 18000D2E
	v_exp_f32_e32 v44, v44                                     // 00000000AD40: 7E58412C
	v_exp_f32_e32 v45, v45                                     // 00000000AD44: 7E5A412D
	v_exp_f32_e32 v46, v46                                     // 00000000AD48: 7E5C412E
	v_exp_f32_e32 v47, v47                                     // 00000000AD4C: 7E5E412F
	buffer_load_dwordx4 a[28:31], v49, s[12:15], 0 offen offset:3072// 00000000AD50: E05C1C00 80831C31
	v_add_f32_e64 v44, v44, 1.0                                // 00000000AD58: D101002C 0001E52C
	v_add_f32_e64 v45, v45, 1.0                                // 00000000AD60: D101002D 0001E52D
	v_add_f32_e64 v46, v46, 1.0                                // 00000000AD68: D101002E 0001E52E
	v_add_f32_e64 v47, v47, 1.0                                // 00000000AD70: D101002F 0001E52F
	v_rcp_f32_e32 v44, v44                                     // 00000000AD78: 7E58452C
	v_rcp_f32_e32 v45, v45                                     // 00000000AD7C: 7E5A452D
	v_rcp_f32_e32 v46, v46                                     // 00000000AD80: 7E5C452E
	v_rcp_f32_e32 v47, v47                                     // 00000000AD84: 7E5E452F
	v_pk_mul_f32 v[140:141], v[140:141], v[44:45]              // 00000000AD88: D3B1408C 1802598C
	v_pk_mul_f32 v[142:143], v[142:143], v[46:47]              // 00000000AD90: D3B1408E 18025D8E
	s_waitcnt vmcnt(24)                                        // 00000000AD98: BF8C4F78
	buffer_load_dwordx4 a[32:35], v50, s[12:15], 0 offen       // 00000000AD9C: E05C1000 80832032
	v_pk_mul_f32 v[44:45], v[144:145], v[144:145]              // 00000000ADA4: D3B1402C 18032190
	v_pk_mul_f32 v[46:47], v[146:147], v[146:147]              // 00000000ADAC: D3B1402E 18032592
	v_pk_fma_f32 v[44:45], v[44:45], s[82:83], v[60:61]        // 00000000ADB4: D3B0402C 1CF0A52C
	v_pk_fma_f32 v[46:47], v[46:47], s[82:83], v[60:61]        // 00000000ADBC: D3B0402E 1CF0A52E
	v_pk_mul_f32 v[44:45], v[44:45], v[144:145]                // 00000000ADC4: D3B1402C 1803212C
	v_pk_mul_f32 v[46:47], v[46:47], v[146:147]                // 00000000ADCC: D3B1402E 1803252E
	v_pk_mul_f32 v[44:45], v[44:45], s[6:7]                    // 00000000ADD4: D3B1402C 18000D2C
	v_pk_mul_f32 v[46:47], v[46:47], s[6:7]                    // 00000000ADDC: D3B1402E 18000D2E
	v_exp_f32_e32 v44, v44                                     // 00000000ADE4: 7E58412C
	v_exp_f32_e32 v45, v45                                     // 00000000ADE8: 7E5A412D
	v_exp_f32_e32 v46, v46                                     // 00000000ADEC: 7E5C412E
	v_exp_f32_e32 v47, v47                                     // 00000000ADF0: 7E5E412F
	buffer_load_dwordx4 a[36:39], v50, s[12:15], 0 offen offset:1024// 00000000ADF4: E05C1400 80832432
	v_add_f32_e64 v44, v44, 1.0                                // 00000000ADFC: D101002C 0001E52C
	v_add_f32_e64 v45, v45, 1.0                                // 00000000AE04: D101002D 0001E52D
	v_add_f32_e64 v46, v46, 1.0                                // 00000000AE0C: D101002E 0001E52E
	v_add_f32_e64 v47, v47, 1.0                                // 00000000AE14: D101002F 0001E52F
	v_rcp_f32_e32 v44, v44                                     // 00000000AE1C: 7E58452C
	v_rcp_f32_e32 v45, v45                                     // 00000000AE20: 7E5A452D
	v_rcp_f32_e32 v46, v46                                     // 00000000AE24: 7E5C452E
	v_rcp_f32_e32 v47, v47                                     // 00000000AE28: 7E5E452F
	v_pk_mul_f32 v[144:145], v[144:145], v[44:45]              // 00000000AE2C: D3B14090 18025990
	v_pk_mul_f32 v[146:147], v[146:147], v[46:47]              // 00000000AE34: D3B14092 18025D92
	buffer_load_dwordx4 a[40:43], v50, s[12:15], 0 offen offset:2048// 00000000AE3C: E05C1800 80832832
	v_pk_mul_f32 v[44:45], v[148:149], v[148:149]              // 00000000AE44: D3B1402C 18032994
	v_pk_mul_f32 v[46:47], v[150:151], v[150:151]              // 00000000AE4C: D3B1402E 18032D96
	v_pk_fma_f32 v[44:45], v[44:45], s[82:83], v[60:61]        // 00000000AE54: D3B0402C 1CF0A52C
	v_pk_fma_f32 v[46:47], v[46:47], s[82:83], v[60:61]        // 00000000AE5C: D3B0402E 1CF0A52E
	v_pk_mul_f32 v[44:45], v[44:45], v[148:149]                // 00000000AE64: D3B1402C 1803292C
	v_pk_mul_f32 v[46:47], v[46:47], v[150:151]                // 00000000AE6C: D3B1402E 18032D2E
	v_pk_mul_f32 v[44:45], v[44:45], s[6:7]                    // 00000000AE74: D3B1402C 18000D2C
	v_pk_mul_f32 v[46:47], v[46:47], s[6:7]                    // 00000000AE7C: D3B1402E 18000D2E
	v_exp_f32_e32 v44, v44                                     // 00000000AE84: 7E58412C
	v_exp_f32_e32 v45, v45                                     // 00000000AE88: 7E5A412D
	v_exp_f32_e32 v46, v46                                     // 00000000AE8C: 7E5C412E
	v_exp_f32_e32 v47, v47                                     // 00000000AE90: 7E5E412F
	buffer_load_dwordx4 a[44:47], v50, s[12:15], 0 offen offset:3072// 00000000AE94: E05C1C00 80832C32
	v_add_f32_e64 v44, v44, 1.0                                // 00000000AE9C: D101002C 0001E52C
	v_add_f32_e64 v45, v45, 1.0                                // 00000000AEA4: D101002D 0001E52D
	v_add_f32_e64 v46, v46, 1.0                                // 00000000AEAC: D101002E 0001E52E
	v_add_f32_e64 v47, v47, 1.0                                // 00000000AEB4: D101002F 0001E52F
	v_rcp_f32_e32 v44, v44                                     // 00000000AEBC: 7E58452C
	v_rcp_f32_e32 v45, v45                                     // 00000000AEC0: 7E5A452D
	v_rcp_f32_e32 v46, v46                                     // 00000000AEC4: 7E5C452E
	v_rcp_f32_e32 v47, v47                                     // 00000000AEC8: 7E5E452F
	v_pk_mul_f32 v[148:149], v[148:149], v[44:45]              // 00000000AECC: D3B14094 18025994
	v_pk_mul_f32 v[150:151], v[150:151], v[46:47]              // 00000000AED4: D3B14096 18025D96
	buffer_load_dwordx4 a[48:51], v51, s[12:15], 0 offen       // 00000000AEDC: E05C1000 80833033
	v_pk_mul_f32 v[44:45], v[152:153], v[152:153]              // 00000000AEE4: D3B1402C 18033198
	v_pk_mul_f32 v[46:47], v[154:155], v[154:155]              // 00000000AEEC: D3B1402E 1803359A
	v_pk_fma_f32 v[44:45], v[44:45], s[82:83], v[60:61]        // 00000000AEF4: D3B0402C 1CF0A52C
	v_pk_fma_f32 v[46:47], v[46:47], s[82:83], v[60:61]        // 00000000AEFC: D3B0402E 1CF0A52E
	v_pk_mul_f32 v[44:45], v[44:45], v[152:153]                // 00000000AF04: D3B1402C 1803312C
	v_pk_mul_f32 v[46:47], v[46:47], v[154:155]                // 00000000AF0C: D3B1402E 1803352E
	v_pk_mul_f32 v[44:45], v[44:45], s[6:7]                    // 00000000AF14: D3B1402C 18000D2C
	v_pk_mul_f32 v[46:47], v[46:47], s[6:7]                    // 00000000AF1C: D3B1402E 18000D2E
	v_exp_f32_e32 v44, v44                                     // 00000000AF24: 7E58412C
	v_exp_f32_e32 v45, v45                                     // 00000000AF28: 7E5A412D
	v_exp_f32_e32 v46, v46                                     // 00000000AF2C: 7E5C412E
	v_exp_f32_e32 v47, v47                                     // 00000000AF30: 7E5E412F
	buffer_load_dwordx4 a[52:55], v51, s[12:15], 0 offen offset:1024// 00000000AF34: E05C1400 80833433
	v_add_f32_e64 v44, v44, 1.0                                // 00000000AF3C: D101002C 0001E52C
	v_add_f32_e64 v45, v45, 1.0                                // 00000000AF44: D101002D 0001E52D
	v_add_f32_e64 v46, v46, 1.0                                // 00000000AF4C: D101002E 0001E52E
	v_add_f32_e64 v47, v47, 1.0                                // 00000000AF54: D101002F 0001E52F
	v_rcp_f32_e32 v44, v44                                     // 00000000AF5C: 7E58452C
	v_rcp_f32_e32 v45, v45                                     // 00000000AF60: 7E5A452D
	v_rcp_f32_e32 v46, v46                                     // 00000000AF64: 7E5C452E
	v_rcp_f32_e32 v47, v47                                     // 00000000AF68: 7E5E452F
	v_pk_mul_f32 v[152:153], v[152:153], v[44:45]              // 00000000AF6C: D3B14098 18025998
	v_pk_mul_f32 v[154:155], v[154:155], v[46:47]              // 00000000AF74: D3B1409A 18025D9A
	buffer_load_dwordx4 a[56:59], v51, s[12:15], 0 offen offset:2048// 00000000AF7C: E05C1800 80833833
	v_pk_mul_f32 v[44:45], v[156:157], v[156:157]              // 00000000AF84: D3B1402C 1803399C
	v_pk_mul_f32 v[46:47], v[158:159], v[158:159]              // 00000000AF8C: D3B1402E 18033D9E
	v_pk_fma_f32 v[44:45], v[44:45], s[82:83], v[60:61]        // 00000000AF94: D3B0402C 1CF0A52C
	v_pk_fma_f32 v[46:47], v[46:47], s[82:83], v[60:61]        // 00000000AF9C: D3B0402E 1CF0A52E
	v_pk_mul_f32 v[44:45], v[44:45], v[156:157]                // 00000000AFA4: D3B1402C 1803392C
	v_pk_mul_f32 v[46:47], v[46:47], v[158:159]                // 00000000AFAC: D3B1402E 18033D2E
	v_pk_mul_f32 v[44:45], v[44:45], s[6:7]                    // 00000000AFB4: D3B1402C 18000D2C
	v_pk_mul_f32 v[46:47], v[46:47], s[6:7]                    // 00000000AFBC: D3B1402E 18000D2E
	v_exp_f32_e32 v44, v44                                     // 00000000AFC4: 7E58412C
	v_exp_f32_e32 v45, v45                                     // 00000000AFC8: 7E5A412D
	v_exp_f32_e32 v46, v46                                     // 00000000AFCC: 7E5C412E
	v_exp_f32_e32 v47, v47                                     // 00000000AFD0: 7E5E412F
	buffer_load_dwordx4 a[60:63], v51, s[12:15], 0 offen offset:3072// 00000000AFD4: E05C1C00 80833C33
	s_add_u32 s12, s78, s12                                    // 00000000AFDC: 800C0C4E
	s_addc_u32 s13, 0, s13                                     // 00000000AFE0: 820D0D80
	v_add_f32_e64 v44, v44, 1.0                                // 00000000AFE4: D101002C 0001E52C
	v_add_f32_e64 v45, v45, 1.0                                // 00000000AFEC: D101002D 0001E52D
	v_add_f32_e64 v46, v46, 1.0                                // 00000000AFF4: D101002E 0001E52E
	v_add_f32_e64 v47, v47, 1.0                                // 00000000AFFC: D101002F 0001E52F
	v_rcp_f32_e32 v44, v44                                     // 00000000B004: 7E58452C
	v_rcp_f32_e32 v45, v45                                     // 00000000B008: 7E5A452D
	v_rcp_f32_e32 v46, v46                                     // 00000000B00C: 7E5C452E
	v_rcp_f32_e32 v47, v47                                     // 00000000B010: 7E5E452F
	v_pk_mul_f32 v[156:157], v[156:157], v[44:45]              // 00000000B014: D3B1409C 1802599C
	v_pk_mul_f32 v[158:159], v[158:159], v[46:47]              // 00000000B01C: D3B1409E 18025D9E
	s_waitcnt vmcnt(24)                                        // 00000000B024: BF8C4F78
	buffer_load_dwordx4 a[64:67], v48, s[12:15], 0 offen       // 00000000B028: E05C1000 80834030
	v_pk_mul_f32 v[44:45], v[160:161], v[160:161]              // 00000000B030: D3B1402C 180341A0
	v_pk_mul_f32 v[46:47], v[162:163], v[162:163]              // 00000000B038: D3B1402E 180345A2
	v_pk_fma_f32 v[44:45], v[44:45], s[82:83], v[60:61]        // 00000000B040: D3B0402C 1CF0A52C
	v_pk_fma_f32 v[46:47], v[46:47], s[82:83], v[60:61]        // 00000000B048: D3B0402E 1CF0A52E
	v_pk_mul_f32 v[44:45], v[44:45], v[160:161]                // 00000000B050: D3B1402C 1803412C
	v_pk_mul_f32 v[46:47], v[46:47], v[162:163]                // 00000000B058: D3B1402E 1803452E
	v_pk_mul_f32 v[44:45], v[44:45], s[6:7]                    // 00000000B060: D3B1402C 18000D2C
	v_pk_mul_f32 v[46:47], v[46:47], s[6:7]                    // 00000000B068: D3B1402E 18000D2E
	v_exp_f32_e32 v44, v44                                     // 00000000B070: 7E58412C
	v_exp_f32_e32 v45, v45                                     // 00000000B074: 7E5A412D
	v_exp_f32_e32 v46, v46                                     // 00000000B078: 7E5C412E
	v_exp_f32_e32 v47, v47                                     // 00000000B07C: 7E5E412F
	buffer_load_dwordx4 a[68:71], v48, s[12:15], 0 offen offset:1024// 00000000B080: E05C1400 80834430
	v_add_f32_e64 v44, v44, 1.0                                // 00000000B088: D101002C 0001E52C
	v_add_f32_e64 v45, v45, 1.0                                // 00000000B090: D101002D 0001E52D
	v_add_f32_e64 v46, v46, 1.0                                // 00000000B098: D101002E 0001E52E
	v_add_f32_e64 v47, v47, 1.0                                // 00000000B0A0: D101002F 0001E52F
	v_rcp_f32_e32 v44, v44                                     // 00000000B0A8: 7E58452C
	v_rcp_f32_e32 v45, v45                                     // 00000000B0AC: 7E5A452D
	v_rcp_f32_e32 v46, v46                                     // 00000000B0B0: 7E5C452E
	v_rcp_f32_e32 v47, v47                                     // 00000000B0B4: 7E5E452F
	v_pk_mul_f32 v[160:161], v[160:161], v[44:45]              // 00000000B0B8: D3B140A0 180259A0
	v_pk_mul_f32 v[162:163], v[162:163], v[46:47]              // 00000000B0C0: D3B140A2 18025DA2
	buffer_load_dwordx4 a[72:75], v48, s[12:15], 0 offen offset:2048// 00000000B0C8: E05C1800 80834830
	v_pk_mul_f32 v[44:45], v[164:165], v[164:165]              // 00000000B0D0: D3B1402C 180349A4
	v_pk_mul_f32 v[46:47], v[166:167], v[166:167]              // 00000000B0D8: D3B1402E 18034DA6
	v_pk_fma_f32 v[44:45], v[44:45], s[82:83], v[60:61]        // 00000000B0E0: D3B0402C 1CF0A52C
	v_pk_fma_f32 v[46:47], v[46:47], s[82:83], v[60:61]        // 00000000B0E8: D3B0402E 1CF0A52E
	v_pk_mul_f32 v[44:45], v[44:45], v[164:165]                // 00000000B0F0: D3B1402C 1803492C
	v_pk_mul_f32 v[46:47], v[46:47], v[166:167]                // 00000000B0F8: D3B1402E 18034D2E
	v_pk_mul_f32 v[44:45], v[44:45], s[6:7]                    // 00000000B100: D3B1402C 18000D2C
	v_pk_mul_f32 v[46:47], v[46:47], s[6:7]                    // 00000000B108: D3B1402E 18000D2E
	v_exp_f32_e32 v44, v44                                     // 00000000B110: 7E58412C
	v_exp_f32_e32 v45, v45                                     // 00000000B114: 7E5A412D
	v_exp_f32_e32 v46, v46                                     // 00000000B118: 7E5C412E
	v_exp_f32_e32 v47, v47                                     // 00000000B11C: 7E5E412F
	buffer_load_dwordx4 a[76:79], v48, s[12:15], 0 offen offset:3072// 00000000B120: E05C1C00 80834C30
	v_add_f32_e64 v44, v44, 1.0                                // 00000000B128: D101002C 0001E52C
	v_add_f32_e64 v45, v45, 1.0                                // 00000000B130: D101002D 0001E52D
	v_add_f32_e64 v46, v46, 1.0                                // 00000000B138: D101002E 0001E52E
	v_add_f32_e64 v47, v47, 1.0                                // 00000000B140: D101002F 0001E52F
	v_rcp_f32_e32 v44, v44                                     // 00000000B148: 7E58452C
	v_rcp_f32_e32 v45, v45                                     // 00000000B14C: 7E5A452D
	v_rcp_f32_e32 v46, v46                                     // 00000000B150: 7E5C452E
	v_rcp_f32_e32 v47, v47                                     // 00000000B154: 7E5E452F
	v_pk_mul_f32 v[164:165], v[164:165], v[44:45]              // 00000000B158: D3B140A4 180259A4
	v_pk_mul_f32 v[166:167], v[166:167], v[46:47]              // 00000000B160: D3B140A6 18025DA6
	buffer_load_dwordx4 a[80:83], v49, s[12:15], 0 offen       // 00000000B168: E05C1000 80835031
	v_pk_mul_f32 v[44:45], v[168:169], v[168:169]              // 00000000B170: D3B1402C 180351A8
	v_pk_mul_f32 v[46:47], v[170:171], v[170:171]              // 00000000B178: D3B1402E 180355AA
	v_pk_fma_f32 v[44:45], v[44:45], s[82:83], v[60:61]        // 00000000B180: D3B0402C 1CF0A52C
	v_pk_fma_f32 v[46:47], v[46:47], s[82:83], v[60:61]        // 00000000B188: D3B0402E 1CF0A52E
	v_pk_mul_f32 v[44:45], v[44:45], v[168:169]                // 00000000B190: D3B1402C 1803512C
	v_pk_mul_f32 v[46:47], v[46:47], v[170:171]                // 00000000B198: D3B1402E 1803552E
	v_pk_mul_f32 v[44:45], v[44:45], s[6:7]                    // 00000000B1A0: D3B1402C 18000D2C
	v_pk_mul_f32 v[46:47], v[46:47], s[6:7]                    // 00000000B1A8: D3B1402E 18000D2E
	v_exp_f32_e32 v44, v44                                     // 00000000B1B0: 7E58412C
	v_exp_f32_e32 v45, v45                                     // 00000000B1B4: 7E5A412D
	v_exp_f32_e32 v46, v46                                     // 00000000B1B8: 7E5C412E
	v_exp_f32_e32 v47, v47                                     // 00000000B1BC: 7E5E412F
	buffer_load_dwordx4 a[84:87], v49, s[12:15], 0 offen offset:1024// 00000000B1C0: E05C1400 80835431
	v_add_f32_e64 v44, v44, 1.0                                // 00000000B1C8: D101002C 0001E52C
	v_add_f32_e64 v45, v45, 1.0                                // 00000000B1D0: D101002D 0001E52D
	v_add_f32_e64 v46, v46, 1.0                                // 00000000B1D8: D101002E 0001E52E
	v_add_f32_e64 v47, v47, 1.0                                // 00000000B1E0: D101002F 0001E52F
	v_rcp_f32_e32 v44, v44                                     // 00000000B1E8: 7E58452C
	v_rcp_f32_e32 v45, v45                                     // 00000000B1EC: 7E5A452D
	v_rcp_f32_e32 v46, v46                                     // 00000000B1F0: 7E5C452E
	v_rcp_f32_e32 v47, v47                                     // 00000000B1F4: 7E5E452F
	v_pk_mul_f32 v[168:169], v[168:169], v[44:45]              // 00000000B1F8: D3B140A8 180259A8
	v_pk_mul_f32 v[170:171], v[170:171], v[46:47]              // 00000000B200: D3B140AA 18025DAA
	buffer_load_dwordx4 a[88:91], v49, s[12:15], 0 offen offset:2048// 00000000B208: E05C1800 80835831
	v_pk_mul_f32 v[44:45], v[172:173], v[172:173]              // 00000000B210: D3B1402C 180359AC
	v_pk_mul_f32 v[46:47], v[174:175], v[174:175]              // 00000000B218: D3B1402E 18035DAE
	v_pk_fma_f32 v[44:45], v[44:45], s[82:83], v[60:61]        // 00000000B220: D3B0402C 1CF0A52C
	v_pk_fma_f32 v[46:47], v[46:47], s[82:83], v[60:61]        // 00000000B228: D3B0402E 1CF0A52E
	v_pk_mul_f32 v[44:45], v[44:45], v[172:173]                // 00000000B230: D3B1402C 1803592C
	v_pk_mul_f32 v[46:47], v[46:47], v[174:175]                // 00000000B238: D3B1402E 18035D2E
	v_pk_mul_f32 v[44:45], v[44:45], s[6:7]                    // 00000000B240: D3B1402C 18000D2C
	v_pk_mul_f32 v[46:47], v[46:47], s[6:7]                    // 00000000B248: D3B1402E 18000D2E
	v_exp_f32_e32 v44, v44                                     // 00000000B250: 7E58412C
	v_exp_f32_e32 v45, v45                                     // 00000000B254: 7E5A412D
	v_exp_f32_e32 v46, v46                                     // 00000000B258: 7E5C412E
	v_exp_f32_e32 v47, v47                                     // 00000000B25C: 7E5E412F
	buffer_load_dwordx4 a[92:95], v49, s[12:15], 0 offen offset:3072// 00000000B260: E05C1C00 80835C31
	v_add_f32_e64 v44, v44, 1.0                                // 00000000B268: D101002C 0001E52C
	v_add_f32_e64 v45, v45, 1.0                                // 00000000B270: D101002D 0001E52D
	v_add_f32_e64 v46, v46, 1.0                                // 00000000B278: D101002E 0001E52E
	v_add_f32_e64 v47, v47, 1.0                                // 00000000B280: D101002F 0001E52F
	v_rcp_f32_e32 v44, v44                                     // 00000000B288: 7E58452C
	v_rcp_f32_e32 v45, v45                                     // 00000000B28C: 7E5A452D
	v_rcp_f32_e32 v46, v46                                     // 00000000B290: 7E5C452E
	v_rcp_f32_e32 v47, v47                                     // 00000000B294: 7E5E452F
	v_pk_mul_f32 v[172:173], v[172:173], v[44:45]              // 00000000B298: D3B140AC 180259AC
	v_pk_mul_f32 v[174:175], v[174:175], v[46:47]              // 00000000B2A0: D3B140AE 18025DAE
	s_waitcnt vmcnt(24)                                        // 00000000B2A8: BF8C4F78
	buffer_load_dwordx4 a[96:99], v50, s[12:15], 0 offen       // 00000000B2AC: E05C1000 80836032
	v_pk_mul_f32 v[44:45], v[176:177], v[176:177]              // 00000000B2B4: D3B1402C 180361B0
	v_pk_mul_f32 v[46:47], v[178:179], v[178:179]              // 00000000B2BC: D3B1402E 180365B2
	v_pk_fma_f32 v[44:45], v[44:45], s[82:83], v[60:61]        // 00000000B2C4: D3B0402C 1CF0A52C
	v_pk_fma_f32 v[46:47], v[46:47], s[82:83], v[60:61]        // 00000000B2CC: D3B0402E 1CF0A52E
	v_pk_mul_f32 v[44:45], v[44:45], v[176:177]                // 00000000B2D4: D3B1402C 1803612C
	v_pk_mul_f32 v[46:47], v[46:47], v[178:179]                // 00000000B2DC: D3B1402E 1803652E
	v_pk_mul_f32 v[44:45], v[44:45], s[6:7]                    // 00000000B2E4: D3B1402C 18000D2C
	v_pk_mul_f32 v[46:47], v[46:47], s[6:7]                    // 00000000B2EC: D3B1402E 18000D2E
	v_exp_f32_e32 v44, v44                                     // 00000000B2F4: 7E58412C
	v_exp_f32_e32 v45, v45                                     // 00000000B2F8: 7E5A412D
	v_exp_f32_e32 v46, v46                                     // 00000000B2FC: 7E5C412E
	v_exp_f32_e32 v47, v47                                     // 00000000B300: 7E5E412F
	buffer_load_dwordx4 a[100:103], v50, s[12:15], 0 offen offset:1024// 00000000B304: E05C1400 80836432
	v_add_f32_e64 v44, v44, 1.0                                // 00000000B30C: D101002C 0001E52C
	v_add_f32_e64 v45, v45, 1.0                                // 00000000B314: D101002D 0001E52D
	v_add_f32_e64 v46, v46, 1.0                                // 00000000B31C: D101002E 0001E52E
	v_add_f32_e64 v47, v47, 1.0                                // 00000000B324: D101002F 0001E52F
	v_rcp_f32_e32 v44, v44                                     // 00000000B32C: 7E58452C
	v_rcp_f32_e32 v45, v45                                     // 00000000B330: 7E5A452D
	v_rcp_f32_e32 v46, v46                                     // 00000000B334: 7E5C452E
	v_rcp_f32_e32 v47, v47                                     // 00000000B338: 7E5E452F
	v_pk_mul_f32 v[176:177], v[176:177], v[44:45]              // 00000000B33C: D3B140B0 180259B0
	v_pk_mul_f32 v[178:179], v[178:179], v[46:47]              // 00000000B344: D3B140B2 18025DB2
	buffer_load_dwordx4 a[104:107], v50, s[12:15], 0 offen offset:2048// 00000000B34C: E05C1800 80836832
	v_pk_mul_f32 v[44:45], v[180:181], v[180:181]              // 00000000B354: D3B1402C 180369B4
	v_pk_mul_f32 v[46:47], v[182:183], v[182:183]              // 00000000B35C: D3B1402E 18036DB6
	v_pk_fma_f32 v[44:45], v[44:45], s[82:83], v[60:61]        // 00000000B364: D3B0402C 1CF0A52C
	v_pk_fma_f32 v[46:47], v[46:47], s[82:83], v[60:61]        // 00000000B36C: D3B0402E 1CF0A52E
	v_pk_mul_f32 v[44:45], v[44:45], v[180:181]                // 00000000B374: D3B1402C 1803692C
	v_pk_mul_f32 v[46:47], v[46:47], v[182:183]                // 00000000B37C: D3B1402E 18036D2E
	v_pk_mul_f32 v[44:45], v[44:45], s[6:7]                    // 00000000B384: D3B1402C 18000D2C
	v_pk_mul_f32 v[46:47], v[46:47], s[6:7]                    // 00000000B38C: D3B1402E 18000D2E
	v_exp_f32_e32 v44, v44                                     // 00000000B394: 7E58412C
	v_exp_f32_e32 v45, v45                                     // 00000000B398: 7E5A412D
	v_exp_f32_e32 v46, v46                                     // 00000000B39C: 7E5C412E
	v_exp_f32_e32 v47, v47                                     // 00000000B3A0: 7E5E412F
	buffer_load_dwordx4 a[108:111], v50, s[12:15], 0 offen offset:3072// 00000000B3A4: E05C1C00 80836C32
	v_add_f32_e64 v44, v44, 1.0                                // 00000000B3AC: D101002C 0001E52C
	v_add_f32_e64 v45, v45, 1.0                                // 00000000B3B4: D101002D 0001E52D
	v_add_f32_e64 v46, v46, 1.0                                // 00000000B3BC: D101002E 0001E52E
	v_add_f32_e64 v47, v47, 1.0                                // 00000000B3C4: D101002F 0001E52F
	v_rcp_f32_e32 v44, v44                                     // 00000000B3CC: 7E58452C
	v_rcp_f32_e32 v45, v45                                     // 00000000B3D0: 7E5A452D
	v_rcp_f32_e32 v46, v46                                     // 00000000B3D4: 7E5C452E
	v_rcp_f32_e32 v47, v47                                     // 00000000B3D8: 7E5E452F
	v_pk_mul_f32 v[180:181], v[180:181], v[44:45]              // 00000000B3DC: D3B140B4 180259B4
	v_pk_mul_f32 v[182:183], v[182:183], v[46:47]              // 00000000B3E4: D3B140B6 18025DB6
	buffer_load_dwordx4 a[112:115], v51, s[12:15], 0 offen     // 00000000B3EC: E05C1000 80837033
	v_pk_mul_f32 v[44:45], v[184:185], v[184:185]              // 00000000B3F4: D3B1402C 180371B8
	v_pk_mul_f32 v[46:47], v[186:187], v[186:187]              // 00000000B3FC: D3B1402E 180375BA
	v_pk_fma_f32 v[44:45], v[44:45], s[82:83], v[60:61]        // 00000000B404: D3B0402C 1CF0A52C
	v_pk_fma_f32 v[46:47], v[46:47], s[82:83], v[60:61]        // 00000000B40C: D3B0402E 1CF0A52E
	v_pk_mul_f32 v[44:45], v[44:45], v[184:185]                // 00000000B414: D3B1402C 1803712C
	v_pk_mul_f32 v[46:47], v[46:47], v[186:187]                // 00000000B41C: D3B1402E 1803752E
	v_pk_mul_f32 v[44:45], v[44:45], s[6:7]                    // 00000000B424: D3B1402C 18000D2C
	v_pk_mul_f32 v[46:47], v[46:47], s[6:7]                    // 00000000B42C: D3B1402E 18000D2E
	v_exp_f32_e32 v44, v44                                     // 00000000B434: 7E58412C
	v_exp_f32_e32 v45, v45                                     // 00000000B438: 7E5A412D
	v_exp_f32_e32 v46, v46                                     // 00000000B43C: 7E5C412E
	v_exp_f32_e32 v47, v47                                     // 00000000B440: 7E5E412F
	buffer_load_dwordx4 a[116:119], v51, s[12:15], 0 offen offset:1024// 00000000B444: E05C1400 80837433
	v_add_f32_e64 v44, v44, 1.0                                // 00000000B44C: D101002C 0001E52C
	v_add_f32_e64 v45, v45, 1.0                                // 00000000B454: D101002D 0001E52D
	v_add_f32_e64 v46, v46, 1.0                                // 00000000B45C: D101002E 0001E52E
	v_add_f32_e64 v47, v47, 1.0                                // 00000000B464: D101002F 0001E52F
	v_rcp_f32_e32 v44, v44                                     // 00000000B46C: 7E58452C
	v_rcp_f32_e32 v45, v45                                     // 00000000B470: 7E5A452D
	v_rcp_f32_e32 v46, v46                                     // 00000000B474: 7E5C452E
	v_rcp_f32_e32 v47, v47                                     // 00000000B478: 7E5E452F
	v_pk_mul_f32 v[184:185], v[184:185], v[44:45]              // 00000000B47C: D3B140B8 180259B8
	v_pk_mul_f32 v[186:187], v[186:187], v[46:47]              // 00000000B484: D3B140BA 18025DBA
	buffer_load_dwordx4 a[120:123], v51, s[12:15], 0 offen offset:2048// 00000000B48C: E05C1800 80837833
	v_pk_mul_f32 v[44:45], v[188:189], v[188:189]              // 00000000B494: D3B1402C 180379BC
	v_pk_mul_f32 v[46:47], v[190:191], v[190:191]              // 00000000B49C: D3B1402E 18037DBE
	v_pk_fma_f32 v[44:45], v[44:45], s[82:83], v[60:61]        // 00000000B4A4: D3B0402C 1CF0A52C
	v_pk_fma_f32 v[46:47], v[46:47], s[82:83], v[60:61]        // 00000000B4AC: D3B0402E 1CF0A52E
	v_pk_mul_f32 v[44:45], v[44:45], v[188:189]                // 00000000B4B4: D3B1402C 1803792C
	v_pk_mul_f32 v[46:47], v[46:47], v[190:191]                // 00000000B4BC: D3B1402E 18037D2E
	v_pk_mul_f32 v[44:45], v[44:45], s[6:7]                    // 00000000B4C4: D3B1402C 18000D2C
	v_pk_mul_f32 v[46:47], v[46:47], s[6:7]                    // 00000000B4CC: D3B1402E 18000D2E
	v_exp_f32_e32 v44, v44                                     // 00000000B4D4: 7E58412C
	v_exp_f32_e32 v45, v45                                     // 00000000B4D8: 7E5A412D
	v_exp_f32_e32 v46, v46                                     // 00000000B4DC: 7E5C412E
	v_exp_f32_e32 v47, v47                                     // 00000000B4E0: 7E5E412F
	buffer_load_dwordx4 a[124:127], v51, s[12:15], 0 offen offset:3072// 00000000B4E4: E05C1C00 80837C33
	v_add_f32_e64 v44, v44, 1.0                                // 00000000B4EC: D101002C 0001E52C
	v_add_f32_e64 v45, v45, 1.0                                // 00000000B4F4: D101002D 0001E52D
	v_add_f32_e64 v46, v46, 1.0                                // 00000000B4FC: D101002E 0001E52E
	v_add_f32_e64 v47, v47, 1.0                                // 00000000B504: D101002F 0001E52F
	v_rcp_f32_e32 v44, v44                                     // 00000000B50C: 7E58452C
	v_rcp_f32_e32 v45, v45                                     // 00000000B510: 7E5A452D
	v_rcp_f32_e32 v46, v46                                     // 00000000B514: 7E5C452E
	v_rcp_f32_e32 v47, v47                                     // 00000000B518: 7E5E452F
	v_pk_mul_f32 v[188:189], v[188:189], v[44:45]              // 00000000B51C: D3B140BC 180259BC
	v_pk_mul_f32 v[190:191], v[190:191], v[46:47]              // 00000000B524: D3B140BE 18025DBE
	v_mul_f32_dpp v128, v18, v128 row_newbcast:0 row_mask:0xf bank_mask:0xf// 00000000B52C: 0B0100FA FF015012
	v_mul_f32_dpp v129, v18, v129 row_newbcast:1 row_mask:0xf bank_mask:0xf// 00000000B534: 0B0302FA FF015112
	v_mul_f32_dpp v130, v18, v130 row_newbcast:2 row_mask:0xf bank_mask:0xf// 00000000B53C: 0B0504FA FF015212
	v_mul_f32_dpp v131, v18, v131 row_newbcast:3 row_mask:0xf bank_mask:0xf// 00000000B544: 0B0706FA FF015312
	v_mul_f32_dpp v132, v18, v132 row_newbcast:0 row_mask:0xf bank_mask:0xf// 00000000B54C: 0B0908FA FF015012
	v_mul_f32_dpp v133, v18, v133 row_newbcast:1 row_mask:0xf bank_mask:0xf// 00000000B554: 0B0B0AFA FF015112
	v_mul_f32_dpp v134, v18, v134 row_newbcast:2 row_mask:0xf bank_mask:0xf// 00000000B55C: 0B0D0CFA FF015212
	v_mul_f32_dpp v135, v18, v135 row_newbcast:3 row_mask:0xf bank_mask:0xf// 00000000B564: 0B0F0EFA FF015312
	v_mul_f32_dpp v136, v18, v136 row_newbcast:4 row_mask:0xf bank_mask:0xf// 00000000B56C: 0B1110FA FF015412
	v_mul_f32_dpp v137, v18, v137 row_newbcast:5 row_mask:0xf bank_mask:0xf// 00000000B574: 0B1312FA FF015512
	v_mul_f32_dpp v138, v18, v138 row_newbcast:6 row_mask:0xf bank_mask:0xf// 00000000B57C: 0B1514FA FF015612
	v_mul_f32_dpp v139, v18, v139 row_newbcast:7 row_mask:0xf bank_mask:0xf// 00000000B584: 0B1716FA FF015712
	v_mul_f32_dpp v140, v18, v140 row_newbcast:4 row_mask:0xf bank_mask:0xf// 00000000B58C: 0B1918FA FF015412
	v_mul_f32_dpp v141, v18, v141 row_newbcast:5 row_mask:0xf bank_mask:0xf// 00000000B594: 0B1B1AFA FF015512
	v_mul_f32_dpp v142, v18, v142 row_newbcast:6 row_mask:0xf bank_mask:0xf// 00000000B59C: 0B1D1CFA FF015612
	v_mul_f32_dpp v143, v18, v143 row_newbcast:7 row_mask:0xf bank_mask:0xf// 00000000B5A4: 0B1F1EFA FF015712
	v_mul_f32_dpp v144, v18, v144 row_newbcast:8 row_mask:0xf bank_mask:0xf// 00000000B5AC: 0B2120FA FF015812
	v_mul_f32_dpp v145, v18, v145 row_newbcast:9 row_mask:0xf bank_mask:0xf// 00000000B5B4: 0B2322FA FF015912
	v_mul_f32_dpp v146, v18, v146 row_newbcast:10 row_mask:0xf bank_mask:0xf// 00000000B5BC: 0B2524FA FF015A12
	v_mul_f32_dpp v147, v18, v147 row_newbcast:11 row_mask:0xf bank_mask:0xf// 00000000B5C4: 0B2726FA FF015B12
	v_mul_f32_dpp v148, v18, v148 row_newbcast:8 row_mask:0xf bank_mask:0xf// 00000000B5CC: 0B2928FA FF015812
	v_mul_f32_dpp v149, v18, v149 row_newbcast:9 row_mask:0xf bank_mask:0xf// 00000000B5D4: 0B2B2AFA FF015912
	v_mul_f32_dpp v150, v18, v150 row_newbcast:10 row_mask:0xf bank_mask:0xf// 00000000B5DC: 0B2D2CFA FF015A12
	v_mul_f32_dpp v151, v18, v151 row_newbcast:11 row_mask:0xf bank_mask:0xf// 00000000B5E4: 0B2F2EFA FF015B12
	v_mul_f32_dpp v152, v18, v152 row_newbcast:12 row_mask:0xf bank_mask:0xf// 00000000B5EC: 0B3130FA FF015C12
	v_mul_f32_dpp v153, v18, v153 row_newbcast:13 row_mask:0xf bank_mask:0xf// 00000000B5F4: 0B3332FA FF015D12
	v_mul_f32_dpp v154, v18, v154 row_newbcast:14 row_mask:0xf bank_mask:0xf// 00000000B5FC: 0B3534FA FF015E12
	v_mul_f32_dpp v155, v18, v155 row_newbcast:15 row_mask:0xf bank_mask:0xf// 00000000B604: 0B3736FA FF015F12
	v_mul_f32_dpp v156, v18, v156 row_newbcast:12 row_mask:0xf bank_mask:0xf// 00000000B60C: 0B3938FA FF015C12
	v_mul_f32_dpp v157, v18, v157 row_newbcast:13 row_mask:0xf bank_mask:0xf// 00000000B614: 0B3B3AFA FF015D12
	v_mul_f32_dpp v158, v18, v158 row_newbcast:14 row_mask:0xf bank_mask:0xf// 00000000B61C: 0B3D3CFA FF015E12
	v_mul_f32_dpp v159, v18, v159 row_newbcast:15 row_mask:0xf bank_mask:0xf// 00000000B624: 0B3F3EFA FF015F12
	v_mul_f32_dpp v160, v19, v160 row_newbcast:0 row_mask:0xf bank_mask:0xf// 00000000B62C: 0B4140FA FF015013
	v_mul_f32_dpp v161, v19, v161 row_newbcast:1 row_mask:0xf bank_mask:0xf// 00000000B634: 0B4342FA FF015113
	v_mul_f32_dpp v162, v19, v162 row_newbcast:2 row_mask:0xf bank_mask:0xf// 00000000B63C: 0B4544FA FF015213
	v_mul_f32_dpp v163, v19, v163 row_newbcast:3 row_mask:0xf bank_mask:0xf// 00000000B644: 0B4746FA FF015313
	v_mul_f32_dpp v164, v19, v164 row_newbcast:0 row_mask:0xf bank_mask:0xf// 00000000B64C: 0B4948FA FF015013
	v_mul_f32_dpp v165, v19, v165 row_newbcast:1 row_mask:0xf bank_mask:0xf// 00000000B654: 0B4B4AFA FF015113
	v_mul_f32_dpp v166, v19, v166 row_newbcast:2 row_mask:0xf bank_mask:0xf// 00000000B65C: 0B4D4CFA FF015213
	v_mul_f32_dpp v167, v19, v167 row_newbcast:3 row_mask:0xf bank_mask:0xf// 00000000B664: 0B4F4EFA FF015313
	v_mul_f32_dpp v168, v19, v168 row_newbcast:4 row_mask:0xf bank_mask:0xf// 00000000B66C: 0B5150FA FF015413
	v_mul_f32_dpp v169, v19, v169 row_newbcast:5 row_mask:0xf bank_mask:0xf// 00000000B674: 0B5352FA FF015513
	v_mul_f32_dpp v170, v19, v170 row_newbcast:6 row_mask:0xf bank_mask:0xf// 00000000B67C: 0B5554FA FF015613
	v_mul_f32_dpp v171, v19, v171 row_newbcast:7 row_mask:0xf bank_mask:0xf// 00000000B684: 0B5756FA FF015713
	v_mul_f32_dpp v172, v19, v172 row_newbcast:4 row_mask:0xf bank_mask:0xf// 00000000B68C: 0B5958FA FF015413
	v_mul_f32_dpp v173, v19, v173 row_newbcast:5 row_mask:0xf bank_mask:0xf// 00000000B694: 0B5B5AFA FF015513
	v_mul_f32_dpp v174, v19, v174 row_newbcast:6 row_mask:0xf bank_mask:0xf// 00000000B69C: 0B5D5CFA FF015613
	v_mul_f32_dpp v175, v19, v175 row_newbcast:7 row_mask:0xf bank_mask:0xf// 00000000B6A4: 0B5F5EFA FF015713
	v_mul_f32_dpp v176, v19, v176 row_newbcast:8 row_mask:0xf bank_mask:0xf// 00000000B6AC: 0B6160FA FF015813
	v_mul_f32_dpp v177, v19, v177 row_newbcast:9 row_mask:0xf bank_mask:0xf// 00000000B6B4: 0B6362FA FF015913
	v_mul_f32_dpp v178, v19, v178 row_newbcast:10 row_mask:0xf bank_mask:0xf// 00000000B6BC: 0B6564FA FF015A13
	v_mul_f32_dpp v179, v19, v179 row_newbcast:11 row_mask:0xf bank_mask:0xf// 00000000B6C4: 0B6766FA FF015B13
	v_mul_f32_dpp v180, v19, v180 row_newbcast:8 row_mask:0xf bank_mask:0xf// 00000000B6CC: 0B6968FA FF015813
	v_mul_f32_dpp v181, v19, v181 row_newbcast:9 row_mask:0xf bank_mask:0xf// 00000000B6D4: 0B6B6AFA FF015913
	v_mul_f32_dpp v182, v19, v182 row_newbcast:10 row_mask:0xf bank_mask:0xf// 00000000B6DC: 0B6D6CFA FF015A13
	v_mul_f32_dpp v183, v19, v183 row_newbcast:11 row_mask:0xf bank_mask:0xf// 00000000B6E4: 0B6F6EFA FF015B13
	v_mul_f32_dpp v184, v19, v184 row_newbcast:12 row_mask:0xf bank_mask:0xf// 00000000B6EC: 0B7170FA FF015C13
	v_mul_f32_dpp v185, v19, v185 row_newbcast:13 row_mask:0xf bank_mask:0xf// 00000000B6F4: 0B7372FA FF015D13
	v_mul_f32_dpp v186, v19, v186 row_newbcast:14 row_mask:0xf bank_mask:0xf// 00000000B6FC: 0B7574FA FF015E13
	v_mul_f32_dpp v187, v19, v187 row_newbcast:15 row_mask:0xf bank_mask:0xf// 00000000B704: 0B7776FA FF015F13
	v_mul_f32_dpp v188, v19, v188 row_newbcast:12 row_mask:0xf bank_mask:0xf// 00000000B70C: 0B7978FA FF015C13
	v_mul_f32_dpp v189, v19, v189 row_newbcast:13 row_mask:0xf bank_mask:0xf// 00000000B714: 0B7B7AFA FF015D13
	v_mul_f32_dpp v190, v19, v190 row_newbcast:14 row_mask:0xf bank_mask:0xf// 00000000B71C: 0B7D7CFA FF015E13
	v_mul_f32_dpp v191, v19, v191 row_newbcast:15 row_mask:0xf bank_mask:0xf// 00000000B724: 0B7F7EFA FF015F13
	buffer_load_dword v12, v5, s[16:19], 0 offen               // 00000000B72C: E0501000 80040C05
	v_mov_b32_e32 v22, 0x358637bd                              // 00000000B734: 7E2C02FF 358637BD
	v_mov_b32_e32 v23, 0x358637bd                              // 00000000B73C: 7E2E02FF 358637BD
	v_max3_f32 v22, |v128|, |v129|, v22                        // 00000000B744: D1D30316 045B0380
	v_max3_f32 v22, |v130|, |v131|, v22                        // 00000000B74C: D1D30316 045B0782
	v_max3_f32 v23, |v132|, |v133|, v23                        // 00000000B754: D1D30317 045F0B84
	v_max3_f32 v23, |v134|, |v135|, v23                        // 00000000B75C: D1D30317 045F0F86
	v_max3_f32 v22, |v136|, |v137|, v22                        // 00000000B764: D1D30316 045B1388
	v_max3_f32 v22, |v138|, |v139|, v22                        // 00000000B76C: D1D30316 045B178A
	v_max3_f32 v23, |v140|, |v141|, v23                        // 00000000B774: D1D30317 045F1B8C
	v_max3_f32 v23, |v142|, |v143|, v23                        // 00000000B77C: D1D30317 045F1F8E
	v_max3_f32 v22, |v144|, |v145|, v22                        // 00000000B784: D1D30316 045B2390
	v_max3_f32 v22, |v146|, |v147|, v22                        // 00000000B78C: D1D30316 045B2792
	v_max3_f32 v23, |v148|, |v149|, v23                        // 00000000B794: D1D30317 045F2B94
	v_max3_f32 v23, |v150|, |v151|, v23                        // 00000000B79C: D1D30317 045F2F96
	v_max3_f32 v22, |v152|, |v153|, v22                        // 00000000B7A4: D1D30316 045B3398
	v_max3_f32 v22, |v154|, |v155|, v22                        // 00000000B7AC: D1D30316 045B379A
	v_max3_f32 v23, |v156|, |v157|, v23                        // 00000000B7B4: D1D30317 045F3B9C
	v_max3_f32 v23, |v158|, |v159|, v23                        // 00000000B7BC: D1D30317 045F3F9E
	v_max3_f32 v22, |v160|, |v161|, v22                        // 00000000B7C4: D1D30316 045B43A0
	v_max3_f32 v22, |v162|, |v163|, v22                        // 00000000B7CC: D1D30316 045B47A2
	v_max3_f32 v23, |v164|, |v165|, v23                        // 00000000B7D4: D1D30317 045F4BA4
	v_max3_f32 v23, |v166|, |v167|, v23                        // 00000000B7DC: D1D30317 045F4FA6
	v_max3_f32 v22, |v168|, |v169|, v22                        // 00000000B7E4: D1D30316 045B53A8
	v_max3_f32 v22, |v170|, |v171|, v22                        // 00000000B7EC: D1D30316 045B57AA
	v_max3_f32 v23, |v172|, |v173|, v23                        // 00000000B7F4: D1D30317 045F5BAC
	v_max3_f32 v23, |v174|, |v175|, v23                        // 00000000B7FC: D1D30317 045F5FAE
	v_max3_f32 v22, |v176|, |v177|, v22                        // 00000000B804: D1D30316 045B63B0
	v_max3_f32 v22, |v178|, |v179|, v22                        // 00000000B80C: D1D30316 045B67B2
	v_max3_f32 v23, |v180|, |v181|, v23                        // 00000000B814: D1D30317 045F6BB4
	v_max3_f32 v23, |v182|, |v183|, v23                        // 00000000B81C: D1D30317 045F6FB6
	v_max3_f32 v22, |v184|, |v185|, v22                        // 00000000B824: D1D30316 045B73B8
	v_max3_f32 v22, |v186|, |v187|, v22                        // 00000000B82C: D1D30316 045B77BA
	v_max3_f32 v23, |v188|, |v189|, v23                        // 00000000B834: D1D30317 045F7BBC
	v_max3_f32 v23, |v190|, |v191|, v23                        // 00000000B83C: D1D30317 045F7FBE
	v_lshlrev_b32_e32 v44, 3, v0                               // 00000000B844: 24580083
	s_mul_i32 s60, 0x200, s5                                   // 00000000B848: 923C05FF 00000200
	v_add_u32_e32 v44, s60, v44                                // 00000000B850: 6858583C
	ds_write_b64 v44, v[22:23]                                 // 00000000B854: D89A0000 0000162C
	s_waitcnt lgkmcnt(0)                                       // 00000000B85C: BF8CC07F
	s_barrier                                                  // 00000000B860: BF8A0000
	v_and_b32_e32 v44, 15, v0                                  // 00000000B864: 2658008F
	v_lshlrev_b32_e32 v44, 3, v44                              // 00000000B868: 24585883
	ds_read_b64 v[96:97], v44                                  // 00000000B86C: D8EC0000 6000002C
	ds_read_b64 v[98:99], v44 offset:128                       // 00000000B874: D8EC0080 6200002C
	ds_read_b64 v[100:101], v44 offset:256                     // 00000000B87C: D8EC0100 6400002C
	ds_read_b64 v[102:103], v44 offset:384                     // 00000000B884: D8EC0180 6600002C
	ds_read_b64 v[104:105], v44 offset:512                     // 00000000B88C: D8EC0200 6800002C
	ds_read_b64 v[106:107], v44 offset:640                     // 00000000B894: D8EC0280 6A00002C
	ds_read_b64 v[108:109], v44 offset:768                     // 00000000B89C: D8EC0300 6C00002C
	ds_read_b64 v[110:111], v44 offset:896                     // 00000000B8A4: D8EC0380 6E00002C
	ds_read_b64 v[112:113], v44 offset:1024                    // 00000000B8AC: D8EC0400 7000002C
	ds_read_b64 v[114:115], v44 offset:1152                    // 00000000B8B4: D8EC0480 7200002C
	ds_read_b64 v[116:117], v44 offset:1280                    // 00000000B8BC: D8EC0500 7400002C
	ds_read_b64 v[118:119], v44 offset:1408                    // 00000000B8C4: D8EC0580 7600002C
	ds_read_b64 v[120:121], v44 offset:1536                    // 00000000B8CC: D8EC0600 7800002C
	ds_read_b64 v[122:123], v44 offset:1664                    // 00000000B8D4: D8EC0680 7A00002C
	ds_read_b64 v[124:125], v44 offset:1792                    // 00000000B8DC: D8EC0700 7C00002C
	ds_read_b64 v[126:127], v44 offset:1920                    // 00000000B8E4: D8EC0780 7E00002C
	s_waitcnt lgkmcnt(0)                                       // 00000000B8EC: BF8CC07F
	v_max3_f32 v22, |v96|, |v98|, v22                          // 00000000B8F0: D1D30316 045AC560
	v_max3_f32 v23, |v97|, |v99|, v23                          // 00000000B8F8: D1D30317 045EC761
	v_max3_f32 v22, |v100|, |v102|, v22                        // 00000000B900: D1D30316 045ACD64
	v_max3_f32 v23, |v101|, |v103|, v23                        // 00000000B908: D1D30317 045ECF65
	v_max3_f32 v22, |v104|, |v106|, v22                        // 00000000B910: D1D30316 045AD568
	v_max3_f32 v23, |v105|, |v107|, v23                        // 00000000B918: D1D30317 045ED769
	v_max3_f32 v22, |v108|, |v110|, v22                        // 00000000B920: D1D30316 045ADD6C
	v_max3_f32 v23, |v109|, |v111|, v23                        // 00000000B928: D1D30317 045EDF6D
	v_max3_f32 v22, |v112|, |v114|, v22                        // 00000000B930: D1D30316 045AE570
	v_max3_f32 v23, |v113|, |v115|, v23                        // 00000000B938: D1D30317 045EE771
	v_max3_f32 v22, |v116|, |v118|, v22                        // 00000000B940: D1D30316 045AED74
	v_max3_f32 v23, |v117|, |v119|, v23                        // 00000000B948: D1D30317 045EEF75
	v_max3_f32 v22, |v120|, |v122|, v22                        // 00000000B950: D1D30316 045AF578
	v_max3_f32 v23, |v121|, |v123|, v23                        // 00000000B958: D1D30317 045EF779
	v_max3_f32 v22, |v124|, |v126|, v22                        // 00000000B960: D1D30316 045AFD7C
	v_max3_f32 v23, |v125|, |v127|, v23                        // 00000000B968: D1D30317 045EFF7D
	v_rcp_f32_e32 v22, v22                                     // 00000000B970: 7E2C4516
	v_rcp_f32_e32 v23, v23                                     // 00000000B974: 7E2E4517
	v_mul_f32_e32 v22, 0x42fe0000, v22                         // 00000000B978: 0A2C2CFF 42FE0000
	v_mul_f32_e32 v23, 0x42fe0000, v23                         // 00000000B980: 0A2E2EFF 42FE0000
	v_mul_f32_e32 v128, v22, v128                              // 00000000B988: 0B010116
	v_mul_f32_e32 v129, v22, v129                              // 00000000B98C: 0B030316
	v_mul_f32_e32 v130, v22, v130                              // 00000000B990: 0B050516
	v_mul_f32_e32 v131, v22, v131                              // 00000000B994: 0B070716
	v_cvt_i32_f32_e32 v128, v128                               // 00000000B998: 7F001180
	v_cvt_i32_f32_e32 v129, v129                               // 00000000B99C: 7F021181
	v_cvt_i32_f32_e32 v130, v130                               // 00000000B9A0: 7F041182
	v_cvt_i32_f32_e32 v131, v131                               // 00000000B9A4: 7F061183
	v_perm_b32 v128, v129, v128, s53                           // 00000000B9A8: D1ED0080 00D70181
	v_perm_b32 v128, v130, v128, s54                           // 00000000B9B0: D1ED0080 00DB0182
	v_perm_b32 v128, v131, v128, s55                           // 00000000B9B8: D1ED0080 00DF0183
	v_mul_f32_e32 v132, v23, v132                              // 00000000B9C0: 0B090917
	v_mul_f32_e32 v133, v23, v133                              // 00000000B9C4: 0B0B0B17
	v_mul_f32_e32 v134, v23, v134                              // 00000000B9C8: 0B0D0D17
	v_mul_f32_e32 v135, v23, v135                              // 00000000B9CC: 0B0F0F17
	v_cvt_i32_f32_e32 v132, v132                               // 00000000B9D0: 7F081184
	v_cvt_i32_f32_e32 v133, v133                               // 00000000B9D4: 7F0A1185
	v_cvt_i32_f32_e32 v134, v134                               // 00000000B9D8: 7F0C1186
	v_cvt_i32_f32_e32 v135, v135                               // 00000000B9DC: 7F0E1187
	v_perm_b32 v129, v133, v132, s53                           // 00000000B9E0: D1ED0081 00D70985
	v_perm_b32 v129, v134, v129, s54                           // 00000000B9E8: D1ED0081 00DB0386
	v_perm_b32 v129, v135, v129, s55                           // 00000000B9F0: D1ED0081 00DF0387
	v_mul_f32_e32 v136, v22, v136                              // 00000000B9F8: 0B111116
	v_mul_f32_e32 v137, v22, v137                              // 00000000B9FC: 0B131316
	v_mul_f32_e32 v138, v22, v138                              // 00000000BA00: 0B151516
	v_mul_f32_e32 v139, v22, v139                              // 00000000BA04: 0B171716
	v_cvt_i32_f32_e32 v136, v136                               // 00000000BA08: 7F101188
	v_cvt_i32_f32_e32 v137, v137                               // 00000000BA0C: 7F121189
	v_cvt_i32_f32_e32 v138, v138                               // 00000000BA10: 7F14118A
	v_cvt_i32_f32_e32 v139, v139                               // 00000000BA14: 7F16118B
	v_perm_b32 v130, v137, v136, s53                           // 00000000BA18: D1ED0082 00D71189
	v_perm_b32 v130, v138, v130, s54                           // 00000000BA20: D1ED0082 00DB058A
	v_perm_b32 v130, v139, v130, s55                           // 00000000BA28: D1ED0082 00DF058B
	v_mul_f32_e32 v140, v23, v140                              // 00000000BA30: 0B191917
	v_mul_f32_e32 v141, v23, v141                              // 00000000BA34: 0B1B1B17
	v_mul_f32_e32 v142, v23, v142                              // 00000000BA38: 0B1D1D17
	v_mul_f32_e32 v143, v23, v143                              // 00000000BA3C: 0B1F1F17
	v_cvt_i32_f32_e32 v140, v140                               // 00000000BA40: 7F18118C
	v_cvt_i32_f32_e32 v141, v141                               // 00000000BA44: 7F1A118D
	v_cvt_i32_f32_e32 v142, v142                               // 00000000BA48: 7F1C118E
	v_cvt_i32_f32_e32 v143, v143                               // 00000000BA4C: 7F1E118F
	v_perm_b32 v131, v141, v140, s53                           // 00000000BA50: D1ED0083 00D7198D
	v_perm_b32 v131, v142, v131, s54                           // 00000000BA58: D1ED0083 00DB078E
	v_perm_b32 v131, v143, v131, s55                           // 00000000BA60: D1ED0083 00DF078F
	v_mul_f32_e32 v144, v22, v144                              // 00000000BA68: 0B212116
	v_mul_f32_e32 v145, v22, v145                              // 00000000BA6C: 0B232316
	v_mul_f32_e32 v146, v22, v146                              // 00000000BA70: 0B252516
	v_mul_f32_e32 v147, v22, v147                              // 00000000BA74: 0B272716
	v_cvt_i32_f32_e32 v144, v144                               // 00000000BA78: 7F201190
	v_cvt_i32_f32_e32 v145, v145                               // 00000000BA7C: 7F221191
	v_cvt_i32_f32_e32 v146, v146                               // 00000000BA80: 7F241192
	v_cvt_i32_f32_e32 v147, v147                               // 00000000BA84: 7F261193
	v_perm_b32 v132, v145, v144, s53                           // 00000000BA88: D1ED0084 00D72191
	v_perm_b32 v132, v146, v132, s54                           // 00000000BA90: D1ED0084 00DB0992
	v_perm_b32 v132, v147, v132, s55                           // 00000000BA98: D1ED0084 00DF0993
	v_mul_f32_e32 v148, v23, v148                              // 00000000BAA0: 0B292917
	v_mul_f32_e32 v149, v23, v149                              // 00000000BAA4: 0B2B2B17
	v_mul_f32_e32 v150, v23, v150                              // 00000000BAA8: 0B2D2D17
	v_mul_f32_e32 v151, v23, v151                              // 00000000BAAC: 0B2F2F17
	v_cvt_i32_f32_e32 v148, v148                               // 00000000BAB0: 7F281194
	v_cvt_i32_f32_e32 v149, v149                               // 00000000BAB4: 7F2A1195
	v_cvt_i32_f32_e32 v150, v150                               // 00000000BAB8: 7F2C1196
	v_cvt_i32_f32_e32 v151, v151                               // 00000000BABC: 7F2E1197
	v_perm_b32 v133, v149, v148, s53                           // 00000000BAC0: D1ED0085 00D72995
	v_perm_b32 v133, v150, v133, s54                           // 00000000BAC8: D1ED0085 00DB0B96
	v_perm_b32 v133, v151, v133, s55                           // 00000000BAD0: D1ED0085 00DF0B97
	v_mul_f32_e32 v152, v22, v152                              // 00000000BAD8: 0B313116
	v_mul_f32_e32 v153, v22, v153                              // 00000000BADC: 0B333316
	v_mul_f32_e32 v154, v22, v154                              // 00000000BAE0: 0B353516
	v_mul_f32_e32 v155, v22, v155                              // 00000000BAE4: 0B373716
	v_cvt_i32_f32_e32 v152, v152                               // 00000000BAE8: 7F301198
	v_cvt_i32_f32_e32 v153, v153                               // 00000000BAEC: 7F321199
	v_cvt_i32_f32_e32 v154, v154                               // 00000000BAF0: 7F34119A
	v_cvt_i32_f32_e32 v155, v155                               // 00000000BAF4: 7F36119B
	v_perm_b32 v134, v153, v152, s53                           // 00000000BAF8: D1ED0086 00D73199
	v_perm_b32 v134, v154, v134, s54                           // 00000000BB00: D1ED0086 00DB0D9A
	v_perm_b32 v134, v155, v134, s55                           // 00000000BB08: D1ED0086 00DF0D9B
	v_mul_f32_e32 v156, v23, v156                              // 00000000BB10: 0B393917
	v_mul_f32_e32 v157, v23, v157                              // 00000000BB14: 0B3B3B17
	v_mul_f32_e32 v158, v23, v158                              // 00000000BB18: 0B3D3D17
	v_mul_f32_e32 v159, v23, v159                              // 00000000BB1C: 0B3F3F17
	v_cvt_i32_f32_e32 v156, v156                               // 00000000BB20: 7F38119C
	v_cvt_i32_f32_e32 v157, v157                               // 00000000BB24: 7F3A119D
	v_cvt_i32_f32_e32 v158, v158                               // 00000000BB28: 7F3C119E
	v_cvt_i32_f32_e32 v159, v159                               // 00000000BB2C: 7F3E119F
	v_perm_b32 v135, v157, v156, s53                           // 00000000BB30: D1ED0087 00D7399D
	v_perm_b32 v135, v158, v135, s54                           // 00000000BB38: D1ED0087 00DB0F9E
	v_perm_b32 v135, v159, v135, s55                           // 00000000BB40: D1ED0087 00DF0F9F
	v_mul_f32_e32 v160, v22, v160                              // 00000000BB48: 0B414116
	v_mul_f32_e32 v161, v22, v161                              // 00000000BB4C: 0B434316
	v_mul_f32_e32 v162, v22, v162                              // 00000000BB50: 0B454516
	v_mul_f32_e32 v163, v22, v163                              // 00000000BB54: 0B474716
	v_cvt_i32_f32_e32 v160, v160                               // 00000000BB58: 7F4011A0
	v_cvt_i32_f32_e32 v161, v161                               // 00000000BB5C: 7F4211A1
	v_cvt_i32_f32_e32 v162, v162                               // 00000000BB60: 7F4411A2
	v_cvt_i32_f32_e32 v163, v163                               // 00000000BB64: 7F4611A3
	v_perm_b32 v136, v161, v160, s53                           // 00000000BB68: D1ED0088 00D741A1
	v_perm_b32 v136, v162, v136, s54                           // 00000000BB70: D1ED0088 00DB11A2
	v_perm_b32 v136, v163, v136, s55                           // 00000000BB78: D1ED0088 00DF11A3
	v_mul_f32_e32 v164, v23, v164                              // 00000000BB80: 0B494917
	v_mul_f32_e32 v165, v23, v165                              // 00000000BB84: 0B4B4B17
	v_mul_f32_e32 v166, v23, v166                              // 00000000BB88: 0B4D4D17
	v_mul_f32_e32 v167, v23, v167                              // 00000000BB8C: 0B4F4F17
	v_cvt_i32_f32_e32 v164, v164                               // 00000000BB90: 7F4811A4
	v_cvt_i32_f32_e32 v165, v165                               // 00000000BB94: 7F4A11A5
	v_cvt_i32_f32_e32 v166, v166                               // 00000000BB98: 7F4C11A6
	v_cvt_i32_f32_e32 v167, v167                               // 00000000BB9C: 7F4E11A7
	v_perm_b32 v137, v165, v164, s53                           // 00000000BBA0: D1ED0089 00D749A5
	v_perm_b32 v137, v166, v137, s54                           // 00000000BBA8: D1ED0089 00DB13A6
	v_perm_b32 v137, v167, v137, s55                           // 00000000BBB0: D1ED0089 00DF13A7
	v_mul_f32_e32 v168, v22, v168                              // 00000000BBB8: 0B515116
	v_mul_f32_e32 v169, v22, v169                              // 00000000BBBC: 0B535316
	v_mul_f32_e32 v170, v22, v170                              // 00000000BBC0: 0B555516
	v_mul_f32_e32 v171, v22, v171                              // 00000000BBC4: 0B575716
	v_cvt_i32_f32_e32 v168, v168                               // 00000000BBC8: 7F5011A8
	v_cvt_i32_f32_e32 v169, v169                               // 00000000BBCC: 7F5211A9
	v_cvt_i32_f32_e32 v170, v170                               // 00000000BBD0: 7F5411AA
	v_cvt_i32_f32_e32 v171, v171                               // 00000000BBD4: 7F5611AB
	v_perm_b32 v138, v169, v168, s53                           // 00000000BBD8: D1ED008A 00D751A9
	v_perm_b32 v138, v170, v138, s54                           // 00000000BBE0: D1ED008A 00DB15AA
	v_perm_b32 v138, v171, v138, s55                           // 00000000BBE8: D1ED008A 00DF15AB
	v_mul_f32_e32 v172, v23, v172                              // 00000000BBF0: 0B595917
	v_mul_f32_e32 v173, v23, v173                              // 00000000BBF4: 0B5B5B17
	v_mul_f32_e32 v174, v23, v174                              // 00000000BBF8: 0B5D5D17
	v_mul_f32_e32 v175, v23, v175                              // 00000000BBFC: 0B5F5F17
	v_cvt_i32_f32_e32 v172, v172                               // 00000000BC00: 7F5811AC
	v_cvt_i32_f32_e32 v173, v173                               // 00000000BC04: 7F5A11AD
	v_cvt_i32_f32_e32 v174, v174                               // 00000000BC08: 7F5C11AE
	v_cvt_i32_f32_e32 v175, v175                               // 00000000BC0C: 7F5E11AF
	v_perm_b32 v139, v173, v172, s53                           // 00000000BC10: D1ED008B 00D759AD
	v_perm_b32 v139, v174, v139, s54                           // 00000000BC18: D1ED008B 00DB17AE
	v_perm_b32 v139, v175, v139, s55                           // 00000000BC20: D1ED008B 00DF17AF
	v_mul_f32_e32 v176, v22, v176                              // 00000000BC28: 0B616116
	v_mul_f32_e32 v177, v22, v177                              // 00000000BC2C: 0B636316
	v_mul_f32_e32 v178, v22, v178                              // 00000000BC30: 0B656516
	v_mul_f32_e32 v179, v22, v179                              // 00000000BC34: 0B676716
	v_cvt_i32_f32_e32 v176, v176                               // 00000000BC38: 7F6011B0
	v_cvt_i32_f32_e32 v177, v177                               // 00000000BC3C: 7F6211B1
	v_cvt_i32_f32_e32 v178, v178                               // 00000000BC40: 7F6411B2
	v_cvt_i32_f32_e32 v179, v179                               // 00000000BC44: 7F6611B3
	v_perm_b32 v140, v177, v176, s53                           // 00000000BC48: D1ED008C 00D761B1
	v_perm_b32 v140, v178, v140, s54                           // 00000000BC50: D1ED008C 00DB19B2
	v_perm_b32 v140, v179, v140, s55                           // 00000000BC58: D1ED008C 00DF19B3
	v_mul_f32_e32 v180, v23, v180                              // 00000000BC60: 0B696917
	v_mul_f32_e32 v181, v23, v181                              // 00000000BC64: 0B6B6B17
	v_mul_f32_e32 v182, v23, v182                              // 00000000BC68: 0B6D6D17
	v_mul_f32_e32 v183, v23, v183                              // 00000000BC6C: 0B6F6F17
	v_cvt_i32_f32_e32 v180, v180                               // 00000000BC70: 7F6811B4
	v_cvt_i32_f32_e32 v181, v181                               // 00000000BC74: 7F6A11B5
	v_cvt_i32_f32_e32 v182, v182                               // 00000000BC78: 7F6C11B6
	v_cvt_i32_f32_e32 v183, v183                               // 00000000BC7C: 7F6E11B7
	v_perm_b32 v141, v181, v180, s53                           // 00000000BC80: D1ED008D 00D769B5
	v_perm_b32 v141, v182, v141, s54                           // 00000000BC88: D1ED008D 00DB1BB6
	v_perm_b32 v141, v183, v141, s55                           // 00000000BC90: D1ED008D 00DF1BB7
	v_mul_f32_e32 v184, v22, v184                              // 00000000BC98: 0B717116
	v_mul_f32_e32 v185, v22, v185                              // 00000000BC9C: 0B737316
	v_mul_f32_e32 v186, v22, v186                              // 00000000BCA0: 0B757516
	v_mul_f32_e32 v187, v22, v187                              // 00000000BCA4: 0B777716
	v_cvt_i32_f32_e32 v184, v184                               // 00000000BCA8: 7F7011B8
	v_cvt_i32_f32_e32 v185, v185                               // 00000000BCAC: 7F7211B9
	v_cvt_i32_f32_e32 v186, v186                               // 00000000BCB0: 7F7411BA
	v_cvt_i32_f32_e32 v187, v187                               // 00000000BCB4: 7F7611BB
	v_perm_b32 v142, v185, v184, s53                           // 00000000BCB8: D1ED008E 00D771B9
	v_perm_b32 v142, v186, v142, s54                           // 00000000BCC0: D1ED008E 00DB1DBA
	v_perm_b32 v142, v187, v142, s55                           // 00000000BCC8: D1ED008E 00DF1DBB
	v_mul_f32_e32 v188, v23, v188                              // 00000000BCD0: 0B797917
	v_mul_f32_e32 v189, v23, v189                              // 00000000BCD4: 0B7B7B17
	v_mul_f32_e32 v190, v23, v190                              // 00000000BCD8: 0B7D7D17
	v_mul_f32_e32 v191, v23, v191                              // 00000000BCDC: 0B7F7F17
	v_cvt_i32_f32_e32 v188, v188                               // 00000000BCE0: 7F7811BC
	v_cvt_i32_f32_e32 v189, v189                               // 00000000BCE4: 7F7A11BD
	v_cvt_i32_f32_e32 v190, v190                               // 00000000BCE8: 7F7C11BE
	v_cvt_i32_f32_e32 v191, v191                               // 00000000BCEC: 7F7E11BF
	v_perm_b32 v143, v189, v188, s53                           // 00000000BCF0: D1ED008F 00D779BD
	v_perm_b32 v143, v190, v143, s54                           // 00000000BCF8: D1ED008F 00DB1FBE
	v_perm_b32 v143, v191, v143, s55                           // 00000000BD00: D1ED008F 00DF1FBF
	v_rcp_f32_e32 v24, v22                                     // 00000000BD08: 7E304516
	v_rcp_f32_e32 v25, v23                                     // 00000000BD0C: 7E324517
	v_lshrrev_b32_e32 v44, 5, v0                               // 00000000BD10: 20580085
	v_lshlrev_b32_e32 v45, 5, v44                              // 00000000BD14: 245A5885
	v_and_b32_e32 v44, 31, v0                                  // 00000000BD18: 2658009F
	v_lshrrev_b32_e32 v46, 4, v44                              // 00000000BD1C: 205C5884
	v_add_u32_e32 v45, v46, v45                                // 00000000BD20: 685A5B2E
	v_and_b32_e32 v44, 15, v0                                  // 00000000BD24: 2658008F
	v_lshlrev_b32_e32 v44, 1, v44                              // 00000000BD28: 24585881
	v_add_u32_e32 v45, v44, v45                                // 00000000BD2C: 685A5B2C
	v_lshlrev_b32_e32 v44, 2, v45                              // 00000000BD30: 24585A82
	s_mul_i32 s60, 0x100, s5                                   // 00000000BD34: 923C05FF 00000100
	v_add_u32_e64 v44, v44, s60                                // 00000000BD3C: D134002C 0000792C
	ds_write_b32 v44, v128 offset:2048                         // 00000000BD44: D81A0800 0000802C
	ds_write_b32 v44, v129 offset:10240                        // 00000000BD4C: D81A2800 0000812C
	ds_write_b32 v44, v130 offset:3072                         // 00000000BD54: D81A0C00 0000822C
	ds_write_b32 v44, v131 offset:11264                        // 00000000BD5C: D81A2C00 0000832C
	ds_write_b32 v44, v132 offset:4096                         // 00000000BD64: D81A1000 0000842C
	ds_write_b32 v44, v133 offset:12288                        // 00000000BD6C: D81A3000 0000852C
	ds_write_b32 v44, v134 offset:5120                         // 00000000BD74: D81A1400 0000862C
	ds_write_b32 v44, v135 offset:13312                        // 00000000BD7C: D81A3400 0000872C
	ds_write_b32 v44, v136 offset:6144                         // 00000000BD84: D81A1800 0000882C
	ds_write_b32 v44, v137 offset:14336                        // 00000000BD8C: D81A3800 0000892C
	ds_write_b32 v44, v138 offset:7168                         // 00000000BD94: D81A1C00 00008A2C
	ds_write_b32 v44, v139 offset:15360                        // 00000000BD9C: D81A3C00 00008B2C
	ds_write_b32 v44, v140 offset:8192                         // 00000000BDA4: D81A2000 00008C2C
	ds_write_b32 v44, v141 offset:16384                        // 00000000BDAC: D81A4000 00008D2C
	ds_write_b32 v44, v142 offset:9216                         // 00000000BDB4: D81A2400 00008E2C
	ds_write_b32 v44, v143 offset:17408                        // 00000000BDBC: D81A4400 00008F2C
	s_waitcnt lgkmcnt(0)                                       // 00000000BDC4: BF8CC07F
	s_barrier                                                  // 00000000BDC8: BF8A0000
	v_lshrrev_b32_e32 v44, 4, v0                               // 00000000BDCC: 20580084
	v_lshlrev_b32_e32 v45, 6, v44                              // 00000000BDD0: 245A5886
	v_and_b32_e32 v44, 15, v0                                  // 00000000BDD4: 2658008F
	v_lshlrev_b32_e32 v44, 1, v44                              // 00000000BDD8: 24585881
	v_add_u32_e32 v45, v44, v45                                // 00000000BDDC: 685A5B2C
	v_lshlrev_b32_e32 v44, 2, v45                              // 00000000BDE0: 24585A82
	ds_read_b64 v[128:129], v44 offset:2048                    // 00000000BDE4: D8EC0800 8000002C
	ds_read_b64 v[130:131], v44 offset:2176                    // 00000000BDEC: D8EC0880 8200002C
	ds_read_b64 v[132:133], v44 offset:3072                    // 00000000BDF4: D8EC0C00 8400002C
	ds_read_b64 v[134:135], v44 offset:3200                    // 00000000BDFC: D8EC0C80 8600002C
	ds_read_b64 v[136:137], v44 offset:4096                    // 00000000BE04: D8EC1000 8800002C
	ds_read_b64 v[138:139], v44 offset:4224                    // 00000000BE0C: D8EC1080 8A00002C
	ds_read_b64 v[140:141], v44 offset:5120                    // 00000000BE14: D8EC1400 8C00002C
	ds_read_b64 v[142:143], v44 offset:5248                    // 00000000BE1C: D8EC1480 8E00002C
	ds_read_b64 v[144:145], v44 offset:6144                    // 00000000BE24: D8EC1800 9000002C
	ds_read_b64 v[146:147], v44 offset:6272                    // 00000000BE2C: D8EC1880 9200002C
	ds_read_b64 v[148:149], v44 offset:7168                    // 00000000BE34: D8EC1C00 9400002C
	ds_read_b64 v[150:151], v44 offset:7296                    // 00000000BE3C: D8EC1C80 9600002C
	ds_read_b64 v[152:153], v44 offset:8192                    // 00000000BE44: D8EC2000 9800002C
	ds_read_b64 v[154:155], v44 offset:8320                    // 00000000BE4C: D8EC2080 9A00002C
	ds_read_b64 v[156:157], v44 offset:9216                    // 00000000BE54: D8EC2400 9C00002C
	ds_read_b64 v[158:159], v44 offset:9344                    // 00000000BE5C: D8EC2480 9E00002C
	ds_read_b64 v[160:161], v44 offset:10240                   // 00000000BE64: D8EC2800 A000002C
	ds_read_b64 v[162:163], v44 offset:10368                   // 00000000BE6C: D8EC2880 A200002C
	ds_read_b64 v[164:165], v44 offset:11264                   // 00000000BE74: D8EC2C00 A400002C
	ds_read_b64 v[166:167], v44 offset:11392                   // 00000000BE7C: D8EC2C80 A600002C
	ds_read_b64 v[168:169], v44 offset:12288                   // 00000000BE84: D8EC3000 A800002C
	ds_read_b64 v[170:171], v44 offset:12416                   // 00000000BE8C: D8EC3080 AA00002C
	ds_read_b64 v[172:173], v44 offset:13312                   // 00000000BE94: D8EC3400 AC00002C
	ds_read_b64 v[174:175], v44 offset:13440                   // 00000000BE9C: D8EC3480 AE00002C
	ds_read_b64 v[176:177], v44 offset:14336                   // 00000000BEA4: D8EC3800 B000002C
	ds_read_b64 v[178:179], v44 offset:14464                   // 00000000BEAC: D8EC3880 B200002C
	ds_read_b64 v[180:181], v44 offset:15360                   // 00000000BEB4: D8EC3C00 B400002C
	ds_read_b64 v[182:183], v44 offset:15488                   // 00000000BEBC: D8EC3C80 B600002C
	ds_read_b64 v[184:185], v44 offset:16384                   // 00000000BEC4: D8EC4000 B800002C
	ds_read_b64 v[186:187], v44 offset:16512                   // 00000000BECC: D8EC4080 BA00002C
	ds_read_b64 v[188:189], v44 offset:17408                   // 00000000BED4: D8EC4400 BC00002C
	ds_read_b64 v[190:191], v44 offset:17536                   // 00000000BEDC: D8EC4480 BE00002C
	s_add_u32 s12, s56, s12                                    // 00000000BEE4: 800C0C38
	s_addc_u32 s13, 0, s13                                     // 00000000BEE8: 820D0D80
	s_add_u32 s16, s79, s16                                    // 00000000BEEC: 8010104F
	s_addc_u32 s17, 0, s17                                     // 00000000BEF0: 82111180
	s_waitcnt lgkmcnt(0)                                       // 00000000BEF4: BF8CC07F
	s_barrier                                                  // 00000000BEF8: BF8A0000
	v_mov_b32_e32 v192, 0                                      // 00000000BEFC: 7F800280
	v_mov_b32_e32 v224, 0                                      // 00000000BF00: 7FC00280
	v_mov_b32_e32 v193, 0                                      // 00000000BF04: 7F820280
	v_mov_b32_e32 v225, 0                                      // 00000000BF08: 7FC20280
	v_mov_b32_e32 v194, 0                                      // 00000000BF0C: 7F840280
	v_mov_b32_e32 v226, 0                                      // 00000000BF10: 7FC40280
	v_mov_b32_e32 v195, 0                                      // 00000000BF14: 7F860280
	v_mov_b32_e32 v227, 0                                      // 00000000BF18: 7FC60280
	v_mov_b32_e32 v196, 0                                      // 00000000BF1C: 7F880280
	v_mov_b32_e32 v228, 0                                      // 00000000BF20: 7FC80280
	v_mov_b32_e32 v197, 0                                      // 00000000BF24: 7F8A0280
	v_mov_b32_e32 v229, 0                                      // 00000000BF28: 7FCA0280
	v_mov_b32_e32 v198, 0                                      // 00000000BF2C: 7F8C0280
	v_mov_b32_e32 v230, 0                                      // 00000000BF30: 7FCC0280
	v_mov_b32_e32 v199, 0                                      // 00000000BF34: 7F8E0280
	v_mov_b32_e32 v231, 0                                      // 00000000BF38: 7FCE0280
	v_mov_b32_e32 v200, 0                                      // 00000000BF3C: 7F900280
	v_mov_b32_e32 v232, 0                                      // 00000000BF40: 7FD00280
	v_mov_b32_e32 v201, 0                                      // 00000000BF44: 7F920280
	v_mov_b32_e32 v233, 0                                      // 00000000BF48: 7FD20280
	v_mov_b32_e32 v202, 0                                      // 00000000BF4C: 7F940280
	v_mov_b32_e32 v234, 0                                      // 00000000BF50: 7FD40280
	v_mov_b32_e32 v203, 0                                      // 00000000BF54: 7F960280
	v_mov_b32_e32 v235, 0                                      // 00000000BF58: 7FD60280
	v_mov_b32_e32 v204, 0                                      // 00000000BF5C: 7F980280
	v_mov_b32_e32 v236, 0                                      // 00000000BF60: 7FD80280
	v_mov_b32_e32 v205, 0                                      // 00000000BF64: 7F9A0280
	v_mov_b32_e32 v237, 0                                      // 00000000BF68: 7FDA0280
	v_mov_b32_e32 v206, 0                                      // 00000000BF6C: 7F9C0280
	v_mov_b32_e32 v238, 0                                      // 00000000BF70: 7FDC0280
	v_mov_b32_e32 v207, 0                                      // 00000000BF74: 7F9E0280
	v_mov_b32_e32 v239, 0                                      // 00000000BF78: 7FDE0280
	v_lshlrev_b32_e32 v44, 2, v0                               // 00000000BF7C: 24580082
	s_mul_i32 s60, s86, s71                                    // 00000000BF80: 923C4756
	v_add_u32_e64 v80, v44, s60                                // 00000000BF84: D1340050 0000792C
	v_mov_b32_e32 v81, 0                                       // 00000000BF8C: 7EA20280
	s_mul_i32 s60, s87, s71                                    // 00000000BF90: 923C4757
	v_add_u32_e64 v82, v44, s60                                // 00000000BF94: D1340052 0000792C
	v_mov_b32_e32 v83, 0                                       // 00000000BF9C: 7EA60280
	s_mul_i32 s60, s88, s71                                    // 00000000BFA0: 923C4758
	v_add_u32_e64 v84, v44, s60                                // 00000000BFA4: D1340054 0000792C
	v_mov_b32_e32 v85, 0                                       // 00000000BFAC: 7EAA0280
	s_mul_i32 s60, s89, s71                                    // 00000000BFB0: 923C4759
	v_add_u32_e64 v86, v44, s60                                // 00000000BFB4: D1340056 0000792C
	v_mov_b32_e32 v87, 0                                       // 00000000BFBC: 7EAE0280
	s_mul_i32 s60, s90, s71                                    // 00000000BFC0: 923C475A
	v_add_u32_e64 v88, v44, s60                                // 00000000BFC4: D1340058 0000792C
	v_mov_b32_e32 v89, 0                                       // 00000000BFCC: 7EB20280
	s_mul_i32 s60, s91, s71                                    // 00000000BFD0: 923C475B
	v_add_u32_e64 v90, v44, s60                                // 00000000BFD4: D134005A 0000792C
	v_mov_b32_e32 v91, 0                                       // 00000000BFDC: 7EB60280
	s_mul_i32 s60, s92, s71                                    // 00000000BFE0: 923C475C
	v_add_u32_e64 v92, v44, s60                                // 00000000BFE4: D134005C 0000792C
	v_mov_b32_e32 v93, 0                                       // 00000000BFEC: 7EBA0280
	s_mul_i32 s60, s93, s71                                    // 00000000BFF0: 923C475D
	v_add_u32_e64 v94, v44, s60                                // 00000000BFF4: D134005E 0000792C
	v_mov_b32_e32 v95, 0                                       // 00000000BFFC: 7EBE0280
	ds_write_b64 v3, v[192:193] offset:18432                   // 00000000C000: D89A4800 0000C003
	ds_write_b64 v3, v[194:195] offset:27136                   // 00000000C008: D89A6A00 0000C203
	ds_write_b64 v3, v[196:197] offset:20608                   // 00000000C010: D89A5080 0000C403
	ds_write_b64 v3, v[198:199] offset:29312                   // 00000000C018: D89A7280 0000C603
	ds_write_b64 v3, v[200:201] offset:22784                   // 00000000C020: D89A5900 0000C803
	ds_write_b64 v3, v[202:203] offset:31488                   // 00000000C028: D89A7B00 0000CA03
	ds_write_b64 v3, v[204:205] offset:24960                   // 00000000C030: D89A6180 0000CC03
	ds_write_b64 v3, v[206:207] offset:33664                   // 00000000C038: D89A8380 0000CE03
	s_mov_b32 s80, 0                                           // 00000000C040: BED00080
	s_waitcnt vmcnt(0) expcnt(0) lgkmcnt(0)                    // 00000000C044: BF8C0000

000000000000c048 <label_2552>:
	s_waitcnt vmcnt(25) lgkmcnt(0)                             // 00000000C048: BF8C4079
	s_barrier                                                  // 00000000C04C: BF8A0000
	v_mfma_i32_16x16x32_i8 v[192:195], a[0:1], v[128:129], 0   // 00000000C050: D3D700C0 0A030100
	buffer_load_dwordx4 a[128:131], v48, s[12:15], 0 offen     // 00000000C058: E05C1000 80838030
	v_mfma_i32_16x16x32_i8 v[192:195], a[2:3], v[130:131], v[192:195]// 00000000C060: D3D700C0 0F030502
	ds_read_b32 v64, v4 offset:18432                           // 00000000C068: D86C4800 40000004
	ds_read_b32 v65, v4 offset:22784                           // 00000000C070: D86C5900 41000004
	v_mfma_i32_16x16x32_i8 v[192:195], a[4:5], v[132:133], v[192:195]// 00000000C078: D3D700C0 0F030904
	v_mfma_i32_16x16x32_i8 v[192:195], a[6:7], v[134:135], v[192:195]// 00000000C080: D3D700C0 0F030D06
	ds_read_b32 v66, v4 offset:18464                           // 00000000C088: D86C4820 42000004
	ds_read_b32 v67, v4 offset:22816                           // 00000000C090: D86C5920 43000004
	v_mfma_i32_16x16x32_i8 v[192:195], a[8:9], v[136:137], v[192:195]// 00000000C098: D3D700C0 0F031108
	buffer_load_dwordx4 a[132:135], v48, s[12:15], 0 offen offset:1024// 00000000C0A0: E05C1400 80838430
	v_mfma_i32_16x16x32_i8 v[192:195], a[10:11], v[138:139], v[192:195]// 00000000C0A8: D3D700C0 0F03150A
	ds_read_b32 v68, v4 offset:18496                           // 00000000C0B0: D86C4840 44000004
	ds_read_b32 v69, v4 offset:22848                           // 00000000C0B8: D86C5940 45000004
	v_mfma_i32_16x16x32_i8 v[192:195], a[12:13], v[140:141], v[192:195]// 00000000C0C0: D3D700C0 0F03190C
	v_mfma_i32_16x16x32_i8 v[192:195], a[14:15], v[142:143], v[192:195]// 00000000C0C8: D3D700C0 0F031D0E
	ds_read_b32 v70, v4 offset:18528                           // 00000000C0D0: D86C4860 46000004
	ds_read_b32 v71, v4 offset:22880                           // 00000000C0D8: D86C5960 47000004
	v_mfma_i32_16x16x32_i8 v[196:199], a[0:1], v[160:161], 0   // 00000000C0E0: D3D700C4 0A034100
	buffer_load_dwordx4 a[136:139], v48, s[12:15], 0 offen offset:2048// 00000000C0E8: E05C1800 80838830
	v_mfma_i32_16x16x32_i8 v[196:199], a[2:3], v[162:163], v[196:199]// 00000000C0F0: D3D700C4 0F134502
	ds_read_b32 v72, v4 offset:27136                           // 00000000C0F8: D86C6A00 48000004
	ds_read_b32 v73, v4 offset:31488                           // 00000000C100: D86C7B00 49000004
	v_mfma_i32_16x16x32_i8 v[196:199], a[4:5], v[164:165], v[196:199]// 00000000C108: D3D700C4 0F134904
	v_mfma_i32_16x16x32_i8 v[196:199], a[6:7], v[166:167], v[196:199]// 00000000C110: D3D700C4 0F134D06
	ds_read_b32 v74, v4 offset:27168                           // 00000000C118: D86C6A20 4A000004
	ds_read_b32 v75, v4 offset:31520                           // 00000000C120: D86C7B20 4B000004
	v_mfma_i32_16x16x32_i8 v[196:199], a[8:9], v[168:169], v[196:199]// 00000000C128: D3D700C4 0F135108
	buffer_load_dwordx4 a[140:143], v48, s[12:15], 0 offen offset:3072// 00000000C130: E05C1C00 80838C30
	v_mfma_i32_16x16x32_i8 v[196:199], a[10:11], v[170:171], v[196:199]// 00000000C138: D3D700C4 0F13550A
	ds_read_b32 v76, v4 offset:27200                           // 00000000C140: D86C6A40 4C000004
	ds_read_b32 v77, v4 offset:31552                           // 00000000C148: D86C7B40 4D000004
	v_mfma_i32_16x16x32_i8 v[196:199], a[12:13], v[172:173], v[196:199]// 00000000C150: D3D700C4 0F13590C
	v_mfma_i32_16x16x32_i8 v[196:199], a[14:15], v[174:175], v[196:199]// 00000000C158: D3D700C4 0F135D0E
	ds_read_b32 v78, v4 offset:27232                           // 00000000C160: D86C6A60 4E000004
	ds_read_b32 v79, v4 offset:31584                           // 00000000C168: D86C7B60 4F000004
	v_mfma_i32_16x16x32_i8 v[200:203], a[16:17], v[128:129], 0 // 00000000C170: D3D700C8 0A030110
	buffer_load_dwordx4 a[144:147], v49, s[12:15], 0 offen     // 00000000C178: E05C1000 80839031
	v_mfma_i32_16x16x32_i8 v[200:203], a[18:19], v[130:131], v[200:203]// 00000000C180: D3D700C8 0F230512
	v_mfma_i32_16x16x32_i8 v[200:203], a[20:21], v[132:133], v[200:203]// 00000000C188: D3D700C8 0F230914
	v_mfma_i32_16x16x32_i8 v[200:203], a[22:23], v[134:135], v[200:203]// 00000000C190: D3D700C8 0F230D16
	v_mfma_i32_16x16x32_i8 v[200:203], a[24:25], v[136:137], v[200:203]// 00000000C198: D3D700C8 0F231118
	buffer_load_dwordx4 a[148:151], v49, s[12:15], 0 offen offset:1024// 00000000C1A0: E05C1400 80839431
	v_mfma_i32_16x16x32_i8 v[200:203], a[26:27], v[138:139], v[200:203]// 00000000C1A8: D3D700C8 0F23151A
	v_mfma_i32_16x16x32_i8 v[200:203], a[28:29], v[140:141], v[200:203]// 00000000C1B0: D3D700C8 0F23191C
	v_mfma_i32_16x16x32_i8 v[200:203], a[30:31], v[142:143], v[200:203]// 00000000C1B8: D3D700C8 0F231D1E
	v_mfma_i32_16x16x32_i8 v[204:207], a[16:17], v[160:161], 0 // 00000000C1C0: D3D700CC 0A034110
	buffer_load_dwordx4 a[152:155], v49, s[12:15], 0 offen offset:2048// 00000000C1C8: E05C1800 80839831
	v_mfma_i32_16x16x32_i8 v[204:207], a[18:19], v[162:163], v[204:207]// 00000000C1D0: D3D700CC 0F334512
	v_mfma_i32_16x16x32_i8 v[204:207], a[20:21], v[164:165], v[204:207]// 00000000C1D8: D3D700CC 0F334914
	v_mfma_i32_16x16x32_i8 v[204:207], a[22:23], v[166:167], v[204:207]// 00000000C1E0: D3D700CC 0F334D16
	v_mfma_i32_16x16x32_i8 v[204:207], a[24:25], v[168:169], v[204:207]// 00000000C1E8: D3D700CC 0F335118
	buffer_load_dwordx4 a[156:159], v49, s[12:15], 0 offen offset:3072// 00000000C1F0: E05C1C00 80839C31
	v_mfma_i32_16x16x32_i8 v[204:207], a[26:27], v[170:171], v[204:207]// 00000000C1F8: D3D700CC 0F33551A
	v_mfma_i32_16x16x32_i8 v[204:207], a[28:29], v[172:173], v[204:207]// 00000000C200: D3D700CC 0F33591C
	v_mfma_i32_16x16x32_i8 v[204:207], a[30:31], v[174:175], v[204:207]// 00000000C208: D3D700CC 0F335D1E
	s_waitcnt vmcnt(25)                                        // 00000000C210: BF8C4F79
	v_mfma_i32_16x16x32_i8 v[208:211], a[32:33], v[128:129], 0 // 00000000C214: D3D700D0 0A030120
	buffer_load_dwordx4 a[160:163], v50, s[12:15], 0 offen     // 00000000C21C: E05C1000 8083A032
	v_mfma_i32_16x16x32_i8 v[208:211], a[34:35], v[130:131], v[208:211]// 00000000C224: D3D700D0 0F430522
	v_mfma_i32_16x16x32_i8 v[208:211], a[36:37], v[132:133], v[208:211]// 00000000C22C: D3D700D0 0F430924
	v_mfma_i32_16x16x32_i8 v[208:211], a[38:39], v[134:135], v[208:211]// 00000000C234: D3D700D0 0F430D26
	v_mfma_i32_16x16x32_i8 v[208:211], a[40:41], v[136:137], v[208:211]// 00000000C23C: D3D700D0 0F431128
	buffer_load_dwordx4 a[164:167], v50, s[12:15], 0 offen offset:1024// 00000000C244: E05C1400 8083A432
	v_mfma_i32_16x16x32_i8 v[208:211], a[42:43], v[138:139], v[208:211]// 00000000C24C: D3D700D0 0F43152A
	v_mfma_i32_16x16x32_i8 v[208:211], a[44:45], v[140:141], v[208:211]// 00000000C254: D3D700D0 0F43192C
	v_mfma_i32_16x16x32_i8 v[208:211], a[46:47], v[142:143], v[208:211]// 00000000C25C: D3D700D0 0F431D2E
	v_mfma_i32_16x16x32_i8 v[212:215], a[32:33], v[160:161], 0 // 00000000C264: D3D700D4 0A034120
	buffer_load_dwordx4 a[168:171], v50, s[12:15], 0 offen offset:2048// 00000000C26C: E05C1800 8083A832
	v_mfma_i32_16x16x32_i8 v[212:215], a[34:35], v[162:163], v[212:215]// 00000000C274: D3D700D4 0F534522
	v_mfma_i32_16x16x32_i8 v[212:215], a[36:37], v[164:165], v[212:215]// 00000000C27C: D3D700D4 0F534924
	v_mfma_i32_16x16x32_i8 v[212:215], a[38:39], v[166:167], v[212:215]// 00000000C284: D3D700D4 0F534D26
	v_mfma_i32_16x16x32_i8 v[212:215], a[40:41], v[168:169], v[212:215]// 00000000C28C: D3D700D4 0F535128
	buffer_load_dwordx4 a[172:175], v50, s[12:15], 0 offen offset:3072// 00000000C294: E05C1C00 8083AC32
	v_mfma_i32_16x16x32_i8 v[212:215], a[42:43], v[170:171], v[212:215]// 00000000C29C: D3D700D4 0F53552A
	v_mfma_i32_16x16x32_i8 v[212:215], a[44:45], v[172:173], v[212:215]// 00000000C2A4: D3D700D4 0F53592C
	v_mfma_i32_16x16x32_i8 v[212:215], a[46:47], v[174:175], v[212:215]// 00000000C2AC: D3D700D4 0F535D2E
	v_mfma_i32_16x16x32_i8 v[216:219], a[48:49], v[128:129], 0 // 00000000C2B4: D3D700D8 0A030130
	buffer_load_dwordx4 a[176:179], v51, s[12:15], 0 offen     // 00000000C2BC: E05C1000 8083B033
	v_mfma_i32_16x16x32_i8 v[216:219], a[50:51], v[130:131], v[216:219]// 00000000C2C4: D3D700D8 0F630532
	v_mfma_i32_16x16x32_i8 v[216:219], a[52:53], v[132:133], v[216:219]// 00000000C2CC: D3D700D8 0F630934
	v_mfma_i32_16x16x32_i8 v[216:219], a[54:55], v[134:135], v[216:219]// 00000000C2D4: D3D700D8 0F630D36
	v_mfma_i32_16x16x32_i8 v[216:219], a[56:57], v[136:137], v[216:219]// 00000000C2DC: D3D700D8 0F631138
	buffer_load_dwordx4 a[180:183], v51, s[12:15], 0 offen offset:1024// 00000000C2E4: E05C1400 8083B433
	v_mfma_i32_16x16x32_i8 v[216:219], a[58:59], v[138:139], v[216:219]// 00000000C2EC: D3D700D8 0F63153A
	v_mfma_i32_16x16x32_i8 v[216:219], a[60:61], v[140:141], v[216:219]// 00000000C2F4: D3D700D8 0F63193C
	v_mfma_i32_16x16x32_i8 v[216:219], a[62:63], v[142:143], v[216:219]// 00000000C2FC: D3D700D8 0F631D3E
	v_mfma_i32_16x16x32_i8 v[220:223], a[48:49], v[160:161], 0 // 00000000C304: D3D700DC 0A034130
	buffer_load_dwordx4 a[184:187], v51, s[12:15], 0 offen offset:2048// 00000000C30C: E05C1800 8083B833
	v_mfma_i32_16x16x32_i8 v[220:223], a[50:51], v[162:163], v[220:223]// 00000000C314: D3D700DC 0F734532
	v_mfma_i32_16x16x32_i8 v[220:223], a[52:53], v[164:165], v[220:223]// 00000000C31C: D3D700DC 0F734934
	v_mfma_i32_16x16x32_i8 v[220:223], a[54:55], v[166:167], v[220:223]// 00000000C324: D3D700DC 0F734D36
	v_mfma_i32_16x16x32_i8 v[220:223], a[56:57], v[168:169], v[220:223]// 00000000C32C: D3D700DC 0F735138
	buffer_load_dwordx4 a[188:191], v51, s[12:15], 0 offen offset:3072// 00000000C334: E05C1C00 8083BC33
	s_add_u32 s12, s78, s12                                    // 00000000C33C: 800C0C4E
	s_addc_u32 s13, 0, s13                                     // 00000000C340: 820D0D80
	v_mfma_i32_16x16x32_i8 v[220:223], a[58:59], v[170:171], v[220:223]// 00000000C344: D3D700DC 0F73553A
	v_mfma_i32_16x16x32_i8 v[220:223], a[60:61], v[172:173], v[220:223]// 00000000C34C: D3D700DC 0F73593C
	v_mfma_i32_16x16x32_i8 v[220:223], a[62:63], v[174:175], v[220:223]// 00000000C354: D3D700DC 0F735D3E
	s_waitcnt vmcnt(25)                                        // 00000000C35C: BF8C4F79
	v_mfma_i32_16x16x32_i8 v[192:195], a[64:65], v[144:145], v[192:195]// 00000000C360: D3D700C0 0F032140
	buffer_load_dwordx4 a[192:195], v48, s[12:15], 0 offen     // 00000000C368: E05C1000 8083C030
	v_mfma_i32_16x16x32_i8 v[192:195], a[66:67], v[146:147], v[192:195]// 00000000C370: D3D700C0 0F032542
	ds_write_b64 v3, v[224:225] offset:35840                   // 00000000C378: D89A8C00 0000E003
	v_mfma_i32_16x16x32_i8 v[192:195], a[68:69], v[148:149], v[192:195]// 00000000C380: D3D700C0 0F032944
	v_mfma_i32_16x16x32_i8 v[192:195], a[70:71], v[150:151], v[192:195]// 00000000C388: D3D700C0 0F032D46
	ds_write_b64 v3, v[226:227] offset:44544                   // 00000000C390: D89AAE00 0000E203
	v_mfma_i32_16x16x32_i8 v[192:195], a[72:73], v[152:153], v[192:195]// 00000000C398: D3D700C0 0F033148
	buffer_load_dwordx4 a[196:199], v48, s[12:15], 0 offen offset:1024// 00000000C3A0: E05C1400 8083C430
	v_mfma_i32_16x16x32_i8 v[192:195], a[74:75], v[154:155], v[192:195]// 00000000C3A8: D3D700C0 0F03354A
	ds_write_b64 v3, v[228:229] offset:38016                   // 00000000C3B0: D89A9480 0000E403
	v_mfma_i32_16x16x32_i8 v[192:195], a[76:77], v[156:157], v[192:195]// 00000000C3B8: D3D700C0 0F03394C
	v_mfma_i32_16x16x32_i8 v[192:195], a[78:79], v[158:159], v[192:195]// 00000000C3C0: D3D700C0 0F033D4E
	ds_write_b64 v3, v[230:231] offset:46720                   // 00000000C3C8: D89AB680 0000E603
	v_mfma_i32_16x16x32_i8 v[196:199], a[64:65], v[176:177], v[196:199]// 00000000C3D0: D3D700C4 0F136140
	buffer_load_dwordx4 a[200:203], v48, s[12:15], 0 offen offset:2048// 00000000C3D8: E05C1800 8083C830
	v_mfma_i32_16x16x32_i8 v[196:199], a[66:67], v[178:179], v[196:199]// 00000000C3E0: D3D700C4 0F136542
	ds_write_b64 v3, v[232:233] offset:40192                   // 00000000C3E8: D89A9D00 0000E803
	v_mfma_i32_16x16x32_i8 v[196:199], a[68:69], v[180:181], v[196:199]// 00000000C3F0: D3D700C4 0F136944
	v_mfma_i32_16x16x32_i8 v[196:199], a[70:71], v[182:183], v[196:199]// 00000000C3F8: D3D700C4 0F136D46
	ds_write_b64 v3, v[234:235] offset:48896                   // 00000000C400: D89ABF00 0000EA03
	v_mfma_i32_16x16x32_i8 v[196:199], a[72:73], v[184:185], v[196:199]// 00000000C408: D3D700C4 0F137148
	buffer_load_dwordx4 a[204:207], v48, s[12:15], 0 offen offset:3072// 00000000C410: E05C1C00 8083CC30
	v_mfma_i32_16x16x32_i8 v[196:199], a[74:75], v[186:187], v[196:199]// 00000000C418: D3D700C4 0F13754A
	ds_write_b64 v3, v[236:237] offset:42368                   // 00000000C420: D89AA580 0000EC03
	v_mfma_i32_16x16x32_i8 v[196:199], a[76:77], v[188:189], v[196:199]// 00000000C428: D3D700C4 0F13794C
	v_mfma_i32_16x16x32_i8 v[196:199], a[78:79], v[190:191], v[196:199]// 00000000C430: D3D700C4 0F137D4E
	ds_write_b64 v3, v[238:239] offset:51072                   // 00000000C438: D89AC780 0000EE03
	v_mfma_i32_16x16x32_i8 v[200:203], a[80:81], v[144:145], v[200:203]// 00000000C440: D3D700C8 0F232150
	buffer_load_dwordx4 a[208:211], v49, s[12:15], 0 offen     // 00000000C448: E05C1000 8083D031
	v_mfma_i32_16x16x32_i8 v[200:203], a[82:83], v[146:147], v[200:203]// 00000000C450: D3D700C8 0F232552
	v_mfma_i32_16x16x32_i8 v[200:203], a[84:85], v[148:149], v[200:203]// 00000000C458: D3D700C8 0F232954
	v_mfma_i32_16x16x32_i8 v[200:203], a[86:87], v[150:151], v[200:203]// 00000000C460: D3D700C8 0F232D56
	v_mfma_i32_16x16x32_i8 v[200:203], a[88:89], v[152:153], v[200:203]// 00000000C468: D3D700C8 0F233158
	buffer_load_dwordx4 a[212:215], v49, s[12:15], 0 offen offset:1024// 00000000C470: E05C1400 8083D431
	v_mfma_i32_16x16x32_i8 v[200:203], a[90:91], v[154:155], v[200:203]// 00000000C478: D3D700C8 0F23355A
	v_mfma_i32_16x16x32_i8 v[200:203], a[92:93], v[156:157], v[200:203]// 00000000C480: D3D700C8 0F23395C
	v_mfma_i32_16x16x32_i8 v[200:203], a[94:95], v[158:159], v[200:203]// 00000000C488: D3D700C8 0F233D5E
	v_mfma_i32_16x16x32_i8 v[204:207], a[80:81], v[176:177], v[204:207]// 00000000C490: D3D700CC 0F336150
	buffer_load_dwordx4 a[216:219], v49, s[12:15], 0 offen offset:2048// 00000000C498: E05C1800 8083D831
	v_mfma_i32_16x16x32_i8 v[204:207], a[82:83], v[178:179], v[204:207]// 00000000C4A0: D3D700CC 0F336552
	v_mfma_i32_16x16x32_i8 v[204:207], a[84:85], v[180:181], v[204:207]// 00000000C4A8: D3D700CC 0F336954
	v_mfma_i32_16x16x32_i8 v[204:207], a[86:87], v[182:183], v[204:207]// 00000000C4B0: D3D700CC 0F336D56
	v_mfma_i32_16x16x32_i8 v[204:207], a[88:89], v[184:185], v[204:207]// 00000000C4B8: D3D700CC 0F337158
	buffer_load_dwordx4 a[220:223], v49, s[12:15], 0 offen offset:3072// 00000000C4C0: E05C1C00 8083DC31
	v_mfma_i32_16x16x32_i8 v[204:207], a[90:91], v[186:187], v[204:207]// 00000000C4C8: D3D700CC 0F33755A
	v_mfma_i32_16x16x32_i8 v[204:207], a[92:93], v[188:189], v[204:207]// 00000000C4D0: D3D700CC 0F33795C
	v_mfma_i32_16x16x32_i8 v[204:207], a[94:95], v[190:191], v[204:207]// 00000000C4D8: D3D700CC 0F337D5E
	s_waitcnt vmcnt(24)                                        // 00000000C4E0: BF8C4F78
	v_mfma_i32_16x16x32_i8 v[208:211], a[96:97], v[144:145], v[208:211]// 00000000C4E4: D3D700D0 0F432160
	buffer_load_dwordx4 a[224:227], v50, s[12:15], 0 offen     // 00000000C4EC: E05C1000 8083E032
	v_mfma_i32_16x16x32_i8 v[208:211], a[98:99], v[146:147], v[208:211]// 00000000C4F4: D3D700D0 0F432562
	v_mfma_i32_16x16x32_i8 v[208:211], a[100:101], v[148:149], v[208:211]// 00000000C4FC: D3D700D0 0F432964
	buffer_load_dword v13, v5, s[16:19], 0 offen               // 00000000C504: E0501000 80040D05
	v_mfma_i32_16x16x32_i8 v[208:211], a[102:103], v[150:151], v[208:211]// 00000000C50C: D3D700D0 0F432D66
	v_mfma_i32_16x16x32_i8 v[208:211], a[104:105], v[152:153], v[208:211]// 00000000C514: D3D700D0 0F433168
	buffer_load_dwordx4 a[228:231], v50, s[12:15], 0 offen offset:1024// 00000000C51C: E05C1400 8083E432
	v_mfma_i32_16x16x32_i8 v[208:211], a[106:107], v[154:155], v[208:211]// 00000000C524: D3D700D0 0F43356A
	v_mfma_i32_16x16x32_i8 v[208:211], a[108:109], v[156:157], v[208:211]// 00000000C52C: D3D700D0 0F43396C
	v_mfma_i32_16x16x32_i8 v[208:211], a[110:111], v[158:159], v[208:211]// 00000000C534: D3D700D0 0F433D6E
	v_mfma_i32_16x16x32_i8 v[212:215], a[96:97], v[176:177], v[212:215]// 00000000C53C: D3D700D4 0F536160
	buffer_load_dwordx4 a[232:235], v50, s[12:15], 0 offen offset:2048// 00000000C544: E05C1800 8083E832
	v_mfma_i32_16x16x32_i8 v[212:215], a[98:99], v[178:179], v[212:215]// 00000000C54C: D3D700D4 0F536562
	v_mfma_i32_16x16x32_i8 v[212:215], a[100:101], v[180:181], v[212:215]// 00000000C554: D3D700D4 0F536964
	s_add_u32 s60, 0x200, s80                                  // 00000000C55C: 803C50FF 00000200
	s_cmp_lt_u32 s60, s81                                      // 00000000C564: BF0A513C
	v_mfma_i32_16x16x32_i8 v[212:215], a[102:103], v[182:183], v[212:215]// 00000000C568: D3D700D4 0F536D66
	s_cselect_b32 s56, s56, 0                                  // 00000000C570: 85388038
	s_cselect_b32 s78, s78, 0                                  // 00000000C574: 854E804E
	s_cselect_b32 s79, s79, 0                                  // 00000000C578: 854F804F
	v_mfma_i32_16x16x32_i8 v[212:215], a[104:105], v[184:185], v[212:215]// 00000000C57C: D3D700D4 0F537168
	buffer_load_dwordx4 a[236:239], v50, s[12:15], 0 offen offset:3072// 00000000C584: E05C1C00 8083EC32
	v_mfma_i32_16x16x32_i8 v[212:215], a[106:107], v[186:187], v[212:215]// 00000000C58C: D3D700D4 0F53756A
	v_mfma_i32_16x16x32_i8 v[212:215], a[108:109], v[188:189], v[212:215]// 00000000C594: D3D700D4 0F53796C
	s_add_u32 s16, s79, s16                                    // 00000000C59C: 8010104F
	s_addc_u32 s17, 0, s17                                     // 00000000C5A0: 82111180
	v_mfma_i32_16x16x32_i8 v[212:215], a[110:111], v[190:191], v[212:215]// 00000000C5A4: D3D700D4 0F537D6E
	v_mfma_i32_16x16x32_i8 v[216:219], a[112:113], v[144:145], v[216:219]// 00000000C5AC: D3D700D8 0F632170
	buffer_load_dwordx4 a[240:243], v51, s[12:15], 0 offen     // 00000000C5B4: E05C1000 8083F033
	v_mfma_i32_16x16x32_i8 v[216:219], a[114:115], v[146:147], v[216:219]// 00000000C5BC: D3D700D8 0F632572
	v_mfma_i32_16x16x32_i8 v[216:219], a[116:117], v[148:149], v[216:219]// 00000000C5C4: D3D700D8 0F632974
	v_mfma_i32_16x16x32_i8 v[216:219], a[118:119], v[150:151], v[216:219]// 00000000C5CC: D3D700D8 0F632D76
	v_mfma_i32_16x16x32_i8 v[216:219], a[120:121], v[152:153], v[216:219]// 00000000C5D4: D3D700D8 0F633178
	buffer_load_dwordx4 a[244:247], v51, s[12:15], 0 offen offset:1024// 00000000C5DC: E05C1400 8083F433
	v_mfma_i32_16x16x32_i8 v[216:219], a[122:123], v[154:155], v[216:219]// 00000000C5E4: D3D700D8 0F63357A
	v_mfma_i32_16x16x32_i8 v[216:219], a[124:125], v[156:157], v[216:219]// 00000000C5EC: D3D700D8 0F63397C
	v_mfma_i32_16x16x32_i8 v[216:219], a[126:127], v[158:159], v[216:219]// 00000000C5F4: D3D700D8 0F633D7E
	v_mfma_i32_16x16x32_i8 v[220:223], a[112:113], v[176:177], v[220:223]// 00000000C5FC: D3D700DC 0F736170
	buffer_load_dwordx4 a[248:251], v51, s[12:15], 0 offen offset:2048// 00000000C604: E05C1800 8083F833
	v_mfma_i32_16x16x32_i8 v[220:223], a[114:115], v[178:179], v[220:223]// 00000000C60C: D3D700DC 0F736572
	v_mfma_i32_16x16x32_i8 v[220:223], a[116:117], v[180:181], v[220:223]// 00000000C614: D3D700DC 0F736974
	v_mfma_i32_16x16x32_i8 v[220:223], a[118:119], v[182:183], v[220:223]// 00000000C61C: D3D700DC 0F736D76
	v_mfma_i32_16x16x32_i8 v[220:223], a[120:121], v[184:185], v[220:223]// 00000000C624: D3D700DC 0F737178
	buffer_load_dwordx4 a[252:255], v51, s[12:15], 0 offen offset:3072// 00000000C62C: E05C1C00 8083FC33
	v_mfma_i32_16x16x32_i8 v[220:223], a[122:123], v[186:187], v[220:223]// 00000000C634: D3D700DC 0F73757A
	v_mfma_i32_16x16x32_i8 v[220:223], a[124:125], v[188:189], v[220:223]// 00000000C63C: D3D700DC 0F73797C
	s_add_u32 s12, s56, s12                                    // 00000000C644: 800C0C38
	s_addc_u32 s13, 0, s13                                     // 00000000C648: 820D0D80
	v_mfma_i32_16x16x32_i8 v[220:223], a[126:127], v[190:191], v[220:223]// 00000000C64C: D3D700DC 0F737D7E
	v_mov_b32_e32 v96, v24                                     // 00000000C654: 7EC00318
	v_mov_b32_e32 v100, v20                                    // 00000000C658: 7EC80314
	v_mov_b32_e32 v97, v24                                     // 00000000C65C: 7EC20318
	v_mov_b32_e32 v101, v20                                    // 00000000C660: 7ECA0314
	v_mov_b32_e32 v98, v25                                     // 00000000C664: 7EC40319
	v_mov_b32_e32 v102, v21                                    // 00000000C668: 7ECC0315
	v_mov_b32_e32 v99, v25                                     // 00000000C66C: 7EC60319
	v_mov_b32_e32 v103, v21                                    // 00000000C670: 7ECE0315
	v_cvt_f32_i32_e32 v192, v192                               // 00000000C674: 7F800BC0
	v_cvt_f32_i32_e32 v193, v193                               // 00000000C678: 7F820BC1
	v_cvt_f32_i32_e32 v194, v194                               // 00000000C67C: 7F840BC2
	v_cvt_f32_i32_e32 v195, v195                               // 00000000C680: 7F860BC3
	v_pk_mul_f32 v[192:193], v[96:97], v[192:193]              // 00000000C684: D3B140C0 18038160
	v_pk_mul_f32 v[194:195], v[96:97], v[194:195]              // 00000000C68C: D3B140C2 18038560
	v_mul_f32_dpp v192, v12, v192 row_newbcast:0 row_mask:0xf bank_mask:0xf// 00000000C694: 0B8180FA FF01500C
	v_mul_f32_dpp v193, v12, v193 row_newbcast:1 row_mask:0xf bank_mask:0xf// 00000000C69C: 0B8382FA FF01510C
	v_mul_f32_dpp v194, v12, v194 row_newbcast:2 row_mask:0xf bank_mask:0xf// 00000000C6A4: 0B8584FA FF01520C
	v_mul_f32_dpp v195, v12, v195 row_newbcast:3 row_mask:0xf bank_mask:0xf// 00000000C6AC: 0B8786FA FF01530C
	v_pk_mul_f32 v[192:193], v[100:101], v[192:193]            // 00000000C6B4: D3B140C0 18038164
	v_pk_mul_f32 v[194:195], v[100:101], v[194:195]            // 00000000C6BC: D3B140C2 18038564
	v_cvt_f32_i32_e32 v196, v196                               // 00000000C6C4: 7F880BC4
	v_cvt_f32_i32_e32 v197, v197                               // 00000000C6C8: 7F8A0BC5
	v_cvt_f32_i32_e32 v198, v198                               // 00000000C6CC: 7F8C0BC6
	v_cvt_f32_i32_e32 v199, v199                               // 00000000C6D0: 7F8E0BC7
	v_pk_mul_f32 v[196:197], v[98:99], v[196:197]              // 00000000C6D4: D3B140C4 18038962
	v_pk_mul_f32 v[198:199], v[98:99], v[198:199]              // 00000000C6DC: D3B140C6 18038D62
	v_mul_f32_dpp v196, v12, v196 row_newbcast:0 row_mask:0xf bank_mask:0xf// 00000000C6E4: 0B8988FA FF01500C
	v_mul_f32_dpp v197, v12, v197 row_newbcast:1 row_mask:0xf bank_mask:0xf// 00000000C6EC: 0B8B8AFA FF01510C
	v_mul_f32_dpp v198, v12, v198 row_newbcast:2 row_mask:0xf bank_mask:0xf// 00000000C6F4: 0B8D8CFA FF01520C
	v_mul_f32_dpp v199, v12, v199 row_newbcast:3 row_mask:0xf bank_mask:0xf// 00000000C6FC: 0B8F8EFA FF01530C
	v_pk_mul_f32 v[196:197], v[102:103], v[196:197]            // 00000000C704: D3B140C4 18038966
	v_pk_mul_f32 v[198:199], v[102:103], v[198:199]            // 00000000C70C: D3B140C6 18038D66
	v_cvt_f32_i32_e32 v200, v200                               // 00000000C714: 7F900BC8
	v_cvt_f32_i32_e32 v201, v201                               // 00000000C718: 7F920BC9
	v_cvt_f32_i32_e32 v202, v202                               // 00000000C71C: 7F940BCA
	v_cvt_f32_i32_e32 v203, v203                               // 00000000C720: 7F960BCB
	v_pk_mul_f32 v[200:201], v[96:97], v[200:201]              // 00000000C724: D3B140C8 18039160
	v_pk_mul_f32 v[202:203], v[96:97], v[202:203]              // 00000000C72C: D3B140CA 18039560
	v_mul_f32_dpp v200, v12, v200 row_newbcast:4 row_mask:0xf bank_mask:0xf// 00000000C734: 0B9190FA FF01540C
	v_mul_f32_dpp v201, v12, v201 row_newbcast:5 row_mask:0xf bank_mask:0xf// 00000000C73C: 0B9392FA FF01550C
	v_mul_f32_dpp v202, v12, v202 row_newbcast:6 row_mask:0xf bank_mask:0xf// 00000000C744: 0B9594FA FF01560C
	v_mul_f32_dpp v203, v12, v203 row_newbcast:7 row_mask:0xf bank_mask:0xf// 00000000C74C: 0B9796FA FF01570C
	v_pk_mul_f32 v[200:201], v[100:101], v[200:201]            // 00000000C754: D3B140C8 18039164
	v_pk_mul_f32 v[202:203], v[100:101], v[202:203]            // 00000000C75C: D3B140CA 18039564
	v_cvt_f32_i32_e32 v204, v204                               // 00000000C764: 7F980BCC
	v_cvt_f32_i32_e32 v205, v205                               // 00000000C768: 7F9A0BCD
	v_cvt_f32_i32_e32 v206, v206                               // 00000000C76C: 7F9C0BCE
	v_cvt_f32_i32_e32 v207, v207                               // 00000000C770: 7F9E0BCF
	v_pk_mul_f32 v[204:205], v[98:99], v[204:205]              // 00000000C774: D3B140CC 18039962
	v_pk_mul_f32 v[206:207], v[98:99], v[206:207]              // 00000000C77C: D3B140CE 18039D62
	v_mul_f32_dpp v204, v12, v204 row_newbcast:4 row_mask:0xf bank_mask:0xf// 00000000C784: 0B9998FA FF01540C
	v_mul_f32_dpp v205, v12, v205 row_newbcast:5 row_mask:0xf bank_mask:0xf// 00000000C78C: 0B9B9AFA FF01550C
	v_mul_f32_dpp v206, v12, v206 row_newbcast:6 row_mask:0xf bank_mask:0xf// 00000000C794: 0B9D9CFA FF01560C
	v_mul_f32_dpp v207, v12, v207 row_newbcast:7 row_mask:0xf bank_mask:0xf// 00000000C79C: 0B9F9EFA FF01570C
	v_pk_mul_f32 v[204:205], v[102:103], v[204:205]            // 00000000C7A4: D3B140CC 18039966
	v_pk_mul_f32 v[206:207], v[102:103], v[206:207]            // 00000000C7AC: D3B140CE 18039D66
	v_cvt_f32_i32_e32 v208, v208                               // 00000000C7B4: 7FA00BD0
	v_cvt_f32_i32_e32 v209, v209                               // 00000000C7B8: 7FA20BD1
	v_cvt_f32_i32_e32 v210, v210                               // 00000000C7BC: 7FA40BD2
	v_cvt_f32_i32_e32 v211, v211                               // 00000000C7C0: 7FA60BD3
	v_pk_mul_f32 v[208:209], v[96:97], v[208:209]              // 00000000C7C4: D3B140D0 1803A160
	v_pk_mul_f32 v[210:211], v[96:97], v[210:211]              // 00000000C7CC: D3B140D2 1803A560
	v_mul_f32_dpp v208, v12, v208 row_newbcast:8 row_mask:0xf bank_mask:0xf// 00000000C7D4: 0BA1A0FA FF01580C
	v_mul_f32_dpp v209, v12, v209 row_newbcast:9 row_mask:0xf bank_mask:0xf// 00000000C7DC: 0BA3A2FA FF01590C
	v_mul_f32_dpp v210, v12, v210 row_newbcast:10 row_mask:0xf bank_mask:0xf// 00000000C7E4: 0BA5A4FA FF015A0C
	v_mul_f32_dpp v211, v12, v211 row_newbcast:11 row_mask:0xf bank_mask:0xf// 00000000C7EC: 0BA7A6FA FF015B0C
	v_pk_mul_f32 v[208:209], v[100:101], v[208:209]            // 00000000C7F4: D3B140D0 1803A164
	v_pk_mul_f32 v[210:211], v[100:101], v[210:211]            // 00000000C7FC: D3B140D2 1803A564
	v_cvt_f32_i32_e32 v212, v212                               // 00000000C804: 7FA80BD4
	v_cvt_f32_i32_e32 v213, v213                               // 00000000C808: 7FAA0BD5
	v_cvt_f32_i32_e32 v214, v214                               // 00000000C80C: 7FAC0BD6
	v_cvt_f32_i32_e32 v215, v215                               // 00000000C810: 7FAE0BD7
	v_pk_mul_f32 v[212:213], v[98:99], v[212:213]              // 00000000C814: D3B140D4 1803A962
	v_pk_mul_f32 v[214:215], v[98:99], v[214:215]              // 00000000C81C: D3B140D6 1803AD62
	v_mul_f32_dpp v212, v12, v212 row_newbcast:8 row_mask:0xf bank_mask:0xf// 00000000C824: 0BA9A8FA FF01580C
	v_mul_f32_dpp v213, v12, v213 row_newbcast:9 row_mask:0xf bank_mask:0xf// 00000000C82C: 0BABAAFA FF01590C
	v_mul_f32_dpp v214, v12, v214 row_newbcast:10 row_mask:0xf bank_mask:0xf// 00000000C834: 0BADACFA FF015A0C
	v_mul_f32_dpp v215, v12, v215 row_newbcast:11 row_mask:0xf bank_mask:0xf// 00000000C83C: 0BAFAEFA FF015B0C
	v_pk_mul_f32 v[212:213], v[102:103], v[212:213]            // 00000000C844: D3B140D4 1803A966
	v_pk_mul_f32 v[214:215], v[102:103], v[214:215]            // 00000000C84C: D3B140D6 1803AD66
	v_cvt_f32_i32_e32 v216, v216                               // 00000000C854: 7FB00BD8
	v_cvt_f32_i32_e32 v217, v217                               // 00000000C858: 7FB20BD9
	v_cvt_f32_i32_e32 v218, v218                               // 00000000C85C: 7FB40BDA
	v_cvt_f32_i32_e32 v219, v219                               // 00000000C860: 7FB60BDB
	v_pk_mul_f32 v[216:217], v[96:97], v[216:217]              // 00000000C864: D3B140D8 1803B160
	v_pk_mul_f32 v[218:219], v[96:97], v[218:219]              // 00000000C86C: D3B140DA 1803B560
	v_mul_f32_dpp v216, v12, v216 row_newbcast:12 row_mask:0xf bank_mask:0xf// 00000000C874: 0BB1B0FA FF015C0C
	v_mul_f32_dpp v217, v12, v217 row_newbcast:13 row_mask:0xf bank_mask:0xf// 00000000C87C: 0BB3B2FA FF015D0C
	v_mul_f32_dpp v218, v12, v218 row_newbcast:14 row_mask:0xf bank_mask:0xf// 00000000C884: 0BB5B4FA FF015E0C
	v_mul_f32_dpp v219, v12, v219 row_newbcast:15 row_mask:0xf bank_mask:0xf// 00000000C88C: 0BB7B6FA FF015F0C
	v_pk_mul_f32 v[216:217], v[100:101], v[216:217]            // 00000000C894: D3B140D8 1803B164
	v_pk_mul_f32 v[218:219], v[100:101], v[218:219]            // 00000000C89C: D3B140DA 1803B564
	v_cvt_f32_i32_e32 v220, v220                               // 00000000C8A4: 7FB80BDC
	v_cvt_f32_i32_e32 v221, v221                               // 00000000C8A8: 7FBA0BDD
	v_cvt_f32_i32_e32 v222, v222                               // 00000000C8AC: 7FBC0BDE
	v_cvt_f32_i32_e32 v223, v223                               // 00000000C8B0: 7FBE0BDF
	v_pk_mul_f32 v[220:221], v[98:99], v[220:221]              // 00000000C8B4: D3B140DC 1803B962
	v_pk_mul_f32 v[222:223], v[98:99], v[222:223]              // 00000000C8BC: D3B140DE 1803BD62
	v_mul_f32_dpp v220, v12, v220 row_newbcast:12 row_mask:0xf bank_mask:0xf// 00000000C8C4: 0BB9B8FA FF015C0C
	v_mul_f32_dpp v221, v12, v221 row_newbcast:13 row_mask:0xf bank_mask:0xf// 00000000C8CC: 0BBBBAFA FF015D0C
	v_mul_f32_dpp v222, v12, v222 row_newbcast:14 row_mask:0xf bank_mask:0xf// 00000000C8D4: 0BBDBCFA FF015E0C
	v_mul_f32_dpp v223, v12, v223 row_newbcast:15 row_mask:0xf bank_mask:0xf// 00000000C8DC: 0BBFBEFA FF015F0C
	v_pk_mul_f32 v[220:221], v[102:103], v[220:221]            // 00000000C8E4: D3B140DC 1803B966
	v_pk_mul_f32 v[222:223], v[102:103], v[222:223]            // 00000000C8EC: D3B140DE 1803BD66
	v_cmp_u_f32_e64 s[48:49], v192, v192                       // 00000000C8F4: D0480030 000381C0
	v_add3_u32 v56, v192, v59, 1                               // 00000000C8FC: D1FF0038 020677C0
	v_cndmask_b32_e64 v44, v56, v58, s[48:49]                  // 00000000C904: D100002C 00C27538
	v_cmp_u_f32_e64 s[48:49], v193, v193                       // 00000000C90C: D0480030 000383C1
	v_add3_u32 v56, v193, v59, 1                               // 00000000C914: D1FF0038 020677C1
	v_cndmask_b32_e64 v45, v56, v58, s[48:49]                  // 00000000C91C: D100002D 00C27538
	v_perm_b32 v192, v45, v44, s52                             // 00000000C924: D1ED00C0 00D2592D
	v_cmp_u_f32_e64 s[48:49], v194, v194                       // 00000000C92C: D0480030 000385C2
	v_add3_u32 v56, v194, v59, 1                               // 00000000C934: D1FF0038 020677C2
	v_cndmask_b32_e64 v44, v56, v58, s[48:49]                  // 00000000C93C: D100002C 00C27538
	v_cmp_u_f32_e64 s[48:49], v195, v195                       // 00000000C944: D0480030 000387C3
	v_add3_u32 v56, v195, v59, 1                               // 00000000C94C: D1FF0038 020677C3
	v_cndmask_b32_e64 v45, v56, v58, s[48:49]                  // 00000000C954: D100002D 00C27538
	v_perm_b32 v193, v45, v44, s52                             // 00000000C95C: D1ED00C1 00D2592D
	v_cmp_u_f32_e64 s[48:49], v196, v196                       // 00000000C964: D0480030 000389C4
	v_add3_u32 v56, v196, v59, 1                               // 00000000C96C: D1FF0038 020677C4
	v_cndmask_b32_e64 v44, v56, v58, s[48:49]                  // 00000000C974: D100002C 00C27538
	v_cmp_u_f32_e64 s[48:49], v197, v197                       // 00000000C97C: D0480030 00038BC5
	v_add3_u32 v56, v197, v59, 1                               // 00000000C984: D1FF0038 020677C5
	v_cndmask_b32_e64 v45, v56, v58, s[48:49]                  // 00000000C98C: D100002D 00C27538
	v_perm_b32 v194, v45, v44, s52                             // 00000000C994: D1ED00C2 00D2592D
	v_cmp_u_f32_e64 s[48:49], v198, v198                       // 00000000C99C: D0480030 00038DC6
	v_add3_u32 v56, v198, v59, 1                               // 00000000C9A4: D1FF0038 020677C6
	v_cndmask_b32_e64 v44, v56, v58, s[48:49]                  // 00000000C9AC: D100002C 00C27538
	v_cmp_u_f32_e64 s[48:49], v199, v199                       // 00000000C9B4: D0480030 00038FC7
	v_add3_u32 v56, v199, v59, 1                               // 00000000C9BC: D1FF0038 020677C7
	v_cndmask_b32_e64 v45, v56, v58, s[48:49]                  // 00000000C9C4: D100002D 00C27538
	v_perm_b32 v195, v45, v44, s52                             // 00000000C9CC: D1ED00C3 00D2592D
	v_cmp_u_f32_e64 s[48:49], v200, v200                       // 00000000C9D4: D0480030 000391C8
	v_add3_u32 v56, v200, v59, 1                               // 00000000C9DC: D1FF0038 020677C8
	v_cndmask_b32_e64 v44, v56, v58, s[48:49]                  // 00000000C9E4: D100002C 00C27538
	v_cmp_u_f32_e64 s[48:49], v201, v201                       // 00000000C9EC: D0480030 000393C9
	v_add3_u32 v56, v201, v59, 1                               // 00000000C9F4: D1FF0038 020677C9
	v_cndmask_b32_e64 v45, v56, v58, s[48:49]                  // 00000000C9FC: D100002D 00C27538
	v_perm_b32 v196, v45, v44, s52                             // 00000000CA04: D1ED00C4 00D2592D
	v_cmp_u_f32_e64 s[48:49], v202, v202                       // 00000000CA0C: D0480030 000395CA
	v_add3_u32 v56, v202, v59, 1                               // 00000000CA14: D1FF0038 020677CA
	v_cndmask_b32_e64 v44, v56, v58, s[48:49]                  // 00000000CA1C: D100002C 00C27538
	v_cmp_u_f32_e64 s[48:49], v203, v203                       // 00000000CA24: D0480030 000397CB
	v_add3_u32 v56, v203, v59, 1                               // 00000000CA2C: D1FF0038 020677CB
	v_cndmask_b32_e64 v45, v56, v58, s[48:49]                  // 00000000CA34: D100002D 00C27538
	v_perm_b32 v197, v45, v44, s52                             // 00000000CA3C: D1ED00C5 00D2592D
	v_cmp_u_f32_e64 s[48:49], v204, v204                       // 00000000CA44: D0480030 000399CC
	v_add3_u32 v56, v204, v59, 1                               // 00000000CA4C: D1FF0038 020677CC
	v_cndmask_b32_e64 v44, v56, v58, s[48:49]                  // 00000000CA54: D100002C 00C27538
	v_cmp_u_f32_e64 s[48:49], v205, v205                       // 00000000CA5C: D0480030 00039BCD
	v_add3_u32 v56, v205, v59, 1                               // 00000000CA64: D1FF0038 020677CD
	v_cndmask_b32_e64 v45, v56, v58, s[48:49]                  // 00000000CA6C: D100002D 00C27538
	v_perm_b32 v198, v45, v44, s52                             // 00000000CA74: D1ED00C6 00D2592D
	v_cmp_u_f32_e64 s[48:49], v206, v206                       // 00000000CA7C: D0480030 00039DCE
	v_add3_u32 v56, v206, v59, 1                               // 00000000CA84: D1FF0038 020677CE
	v_cndmask_b32_e64 v44, v56, v58, s[48:49]                  // 00000000CA8C: D100002C 00C27538
	v_cmp_u_f32_e64 s[48:49], v207, v207                       // 00000000CA94: D0480030 00039FCF
	v_add3_u32 v56, v207, v59, 1                               // 00000000CA9C: D1FF0038 020677CF
	v_cndmask_b32_e64 v45, v56, v58, s[48:49]                  // 00000000CAA4: D100002D 00C27538
	v_perm_b32 v199, v45, v44, s52                             // 00000000CAAC: D1ED00C7 00D2592D
	v_cmp_u_f32_e64 s[48:49], v208, v208                       // 00000000CAB4: D0480030 0003A1D0
	v_add3_u32 v56, v208, v59, 1                               // 00000000CABC: D1FF0038 020677D0
	v_cndmask_b32_e64 v44, v56, v58, s[48:49]                  // 00000000CAC4: D100002C 00C27538
	v_cmp_u_f32_e64 s[48:49], v209, v209                       // 00000000CACC: D0480030 0003A3D1
	v_add3_u32 v56, v209, v59, 1                               // 00000000CAD4: D1FF0038 020677D1
	v_cndmask_b32_e64 v45, v56, v58, s[48:49]                  // 00000000CADC: D100002D 00C27538
	v_perm_b32 v200, v45, v44, s52                             // 00000000CAE4: D1ED00C8 00D2592D
	v_cmp_u_f32_e64 s[48:49], v210, v210                       // 00000000CAEC: D0480030 0003A5D2
	v_add3_u32 v56, v210, v59, 1                               // 00000000CAF4: D1FF0038 020677D2
	v_cndmask_b32_e64 v44, v56, v58, s[48:49]                  // 00000000CAFC: D100002C 00C27538
	v_cmp_u_f32_e64 s[48:49], v211, v211                       // 00000000CB04: D0480030 0003A7D3
	v_add3_u32 v56, v211, v59, 1                               // 00000000CB0C: D1FF0038 020677D3
	v_cndmask_b32_e64 v45, v56, v58, s[48:49]                  // 00000000CB14: D100002D 00C27538
	v_perm_b32 v201, v45, v44, s52                             // 00000000CB1C: D1ED00C9 00D2592D
	v_cmp_u_f32_e64 s[48:49], v212, v212                       // 00000000CB24: D0480030 0003A9D4
	v_add3_u32 v56, v212, v59, 1                               // 00000000CB2C: D1FF0038 020677D4
	v_cndmask_b32_e64 v44, v56, v58, s[48:49]                  // 00000000CB34: D100002C 00C27538
	v_cmp_u_f32_e64 s[48:49], v213, v213                       // 00000000CB3C: D0480030 0003ABD5
	v_add3_u32 v56, v213, v59, 1                               // 00000000CB44: D1FF0038 020677D5
	v_cndmask_b32_e64 v45, v56, v58, s[48:49]                  // 00000000CB4C: D100002D 00C27538
	v_perm_b32 v202, v45, v44, s52                             // 00000000CB54: D1ED00CA 00D2592D
	v_cmp_u_f32_e64 s[48:49], v214, v214                       // 00000000CB5C: D0480030 0003ADD6
	v_add3_u32 v56, v214, v59, 1                               // 00000000CB64: D1FF0038 020677D6
	v_cndmask_b32_e64 v44, v56, v58, s[48:49]                  // 00000000CB6C: D100002C 00C27538
	v_cmp_u_f32_e64 s[48:49], v215, v215                       // 00000000CB74: D0480030 0003AFD7
	v_add3_u32 v56, v215, v59, 1                               // 00000000CB7C: D1FF0038 020677D7
	v_cndmask_b32_e64 v45, v56, v58, s[48:49]                  // 00000000CB84: D100002D 00C27538
	v_perm_b32 v203, v45, v44, s52                             // 00000000CB8C: D1ED00CB 00D2592D
	v_cmp_u_f32_e64 s[48:49], v216, v216                       // 00000000CB94: D0480030 0003B1D8
	v_add3_u32 v56, v216, v59, 1                               // 00000000CB9C: D1FF0038 020677D8
	v_cndmask_b32_e64 v44, v56, v58, s[48:49]                  // 00000000CBA4: D100002C 00C27538
	v_cmp_u_f32_e64 s[48:49], v217, v217                       // 00000000CBAC: D0480030 0003B3D9
	v_add3_u32 v56, v217, v59, 1                               // 00000000CBB4: D1FF0038 020677D9
	v_cndmask_b32_e64 v45, v56, v58, s[48:49]                  // 00000000CBBC: D100002D 00C27538
	v_perm_b32 v204, v45, v44, s52                             // 00000000CBC4: D1ED00CC 00D2592D
	v_cmp_u_f32_e64 s[48:49], v218, v218                       // 00000000CBCC: D0480030 0003B5DA
	v_add3_u32 v56, v218, v59, 1                               // 00000000CBD4: D1FF0038 020677DA
	v_cndmask_b32_e64 v44, v56, v58, s[48:49]                  // 00000000CBDC: D100002C 00C27538
	v_cmp_u_f32_e64 s[48:49], v219, v219                       // 00000000CBE4: D0480030 0003B7DB
	v_add3_u32 v56, v219, v59, 1                               // 00000000CBEC: D1FF0038 020677DB
	v_cndmask_b32_e64 v45, v56, v58, s[48:49]                  // 00000000CBF4: D100002D 00C27538
	v_perm_b32 v205, v45, v44, s52                             // 00000000CBFC: D1ED00CD 00D2592D
	v_cmp_u_f32_e64 s[48:49], v220, v220                       // 00000000CC04: D0480030 0003B9DC
	v_add3_u32 v56, v220, v59, 1                               // 00000000CC0C: D1FF0038 020677DC
	v_cndmask_b32_e64 v44, v56, v58, s[48:49]                  // 00000000CC14: D100002C 00C27538
	v_cmp_u_f32_e64 s[48:49], v221, v221                       // 00000000CC1C: D0480030 0003BBDD
	v_add3_u32 v56, v221, v59, 1                               // 00000000CC24: D1FF0038 020677DD
	v_cndmask_b32_e64 v45, v56, v58, s[48:49]                  // 00000000CC2C: D100002D 00C27538
	v_perm_b32 v206, v45, v44, s52                             // 00000000CC34: D1ED00CE 00D2592D
	v_cmp_u_f32_e64 s[48:49], v222, v222                       // 00000000CC3C: D0480030 0003BDDE
	v_add3_u32 v56, v222, v59, 1                               // 00000000CC44: D1FF0038 020677DE
	v_cndmask_b32_e64 v44, v56, v58, s[48:49]                  // 00000000CC4C: D100002C 00C27538
	v_cmp_u_f32_e64 s[48:49], v223, v223                       // 00000000CC54: D0480030 0003BFDF
	v_add3_u32 v56, v223, v59, 1                               // 00000000CC5C: D1FF0038 020677DF
	v_cndmask_b32_e64 v45, v56, v58, s[48:49]                  // 00000000CC64: D100002D 00C27538
	v_perm_b32 v207, v45, v44, s52                             // 00000000CC6C: D1ED00CF 00D2592D
	s_setvskip s20, 0                                          // 00000000CC74: BF108014
	global_atomic_pk_add_bf16 v80, v64, s[8:9]                 // 00000000CC78: DD488000 00084050
	s_setvskip 0, 0                                            // 00000000CC80: BF108080
	s_setvskip s20, 0                                          // 00000000CC84: BF108014
	global_atomic_pk_add_bf16 v80, v65, s[8:9] offset:256      // 00000000CC88: DD488100 00084150
	s_setvskip 0, 0                                            // 00000000CC90: BF108080
	s_setvskip s20, 1                                          // 00000000CC94: BF108114
	global_atomic_pk_add_bf16 v82, v66, s[8:9]                 // 00000000CC98: DD488000 00084252
	s_setvskip 0, 0                                            // 00000000CCA0: BF108080
	s_setvskip s20, 1                                          // 00000000CCA4: BF108114
	global_atomic_pk_add_bf16 v82, v67, s[8:9] offset:256      // 00000000CCA8: DD488100 00084352
	s_setvskip 0, 0                                            // 00000000CCB0: BF108080
	s_setvskip s20, 2                                          // 00000000CCB4: BF108214
	global_atomic_pk_add_bf16 v84, v68, s[8:9]                 // 00000000CCB8: DD488000 00084454
	s_setvskip 0, 0                                            // 00000000CCC0: BF108080
	s_setvskip s20, 2                                          // 00000000CCC4: BF108214
	global_atomic_pk_add_bf16 v84, v69, s[8:9] offset:256      // 00000000CCC8: DD488100 00084554
	s_setvskip 0, 0                                            // 00000000CCD0: BF108080
	s_setvskip s20, 3                                          // 00000000CCD4: BF108314
	global_atomic_pk_add_bf16 v86, v70, s[8:9]                 // 00000000CCD8: DD488000 00084656
	s_setvskip 0, 0                                            // 00000000CCE0: BF108080
	s_setvskip s20, 3                                          // 00000000CCE4: BF108314
	global_atomic_pk_add_bf16 v86, v71, s[8:9] offset:256      // 00000000CCE8: DD488100 00084756
	s_setvskip 0, 0                                            // 00000000CCF0: BF108080
	s_setvskip s20, 4                                          // 00000000CCF4: BF108414
	global_atomic_pk_add_bf16 v88, v72, s[8:9]                 // 00000000CCF8: DD488000 00084858
	s_setvskip 0, 0                                            // 00000000CD00: BF108080
	s_setvskip s20, 4                                          // 00000000CD04: BF108414
	global_atomic_pk_add_bf16 v88, v73, s[8:9] offset:256      // 00000000CD08: DD488100 00084958
	s_setvskip 0, 0                                            // 00000000CD10: BF108080
	s_setvskip s20, 5                                          // 00000000CD14: BF108514
	global_atomic_pk_add_bf16 v90, v74, s[8:9]                 // 00000000CD18: DD488000 00084A5A
	s_setvskip 0, 0                                            // 00000000CD20: BF108080
	s_setvskip s20, 5                                          // 00000000CD24: BF108514
	global_atomic_pk_add_bf16 v90, v75, s[8:9] offset:256      // 00000000CD28: DD488100 00084B5A
	s_setvskip 0, 0                                            // 00000000CD30: BF108080
	s_setvskip s20, 6                                          // 00000000CD34: BF108614
	global_atomic_pk_add_bf16 v92, v76, s[8:9]                 // 00000000CD38: DD488000 00084C5C
	s_setvskip 0, 0                                            // 00000000CD40: BF108080
	s_setvskip s20, 6                                          // 00000000CD44: BF108614
	global_atomic_pk_add_bf16 v92, v77, s[8:9] offset:256      // 00000000CD48: DD488100 00084D5C
	s_setvskip 0, 0                                            // 00000000CD50: BF108080
	s_setvskip s20, 7                                          // 00000000CD54: BF108714
	global_atomic_pk_add_bf16 v94, v78, s[8:9]                 // 00000000CD58: DD488000 00084E5E
	s_setvskip 0, 0                                            // 00000000CD60: BF108080
	s_setvskip s20, 7                                          // 00000000CD64: BF108714
	global_atomic_pk_add_bf16 v94, v79, s[8:9] offset:256      // 00000000CD68: DD488100 00084F5E
	s_setvskip 0, 0                                            // 00000000CD70: BF108080
	s_cmp_ge_u32 s80, 0x200                                    // 00000000CD74: BF09FF50 00000200
	s_cselect_b32 s59, 0x200, s59                              // 00000000CD7C: 853B3BFF 00000200
	s_add_u32 s8, s59, s8                                      // 00000000CD84: 8008083B
	s_addc_u32 s9, 0, s9                                       // 00000000CD88: 82090980
	s_addk_i32 s80, 0x100                                      // 00000000CD8C: B7500100
	s_cmp_lt_i32 s80, s81                                      // 00000000CD90: BF045150
	s_cbranch_scc0 label_17FA                                  // 00000000CD94: BF84EF54
	s_waitcnt vmcnt(25) lgkmcnt(0)                             // 00000000CD98: BF8C4079
	s_barrier                                                  // 00000000CD9C: BF8A0000
	v_mfma_i32_16x16x32_i8 v[224:227], a[128:129], v[128:129], 0// 00000000CDA0: D3D700E0 0A030180
	buffer_load_dwordx4 a[0:3], v48, s[12:15], 0 offen         // 00000000CDA8: E05C1000 80830030
	v_mfma_i32_16x16x32_i8 v[224:227], a[130:131], v[130:131], v[224:227]// 00000000CDB0: D3D700E0 0F830582
	ds_read_b32 v64, v4 offset:35840                           // 00000000CDB8: D86C8C00 40000004
	ds_read_b32 v65, v4 offset:40192                           // 00000000CDC0: D86C9D00 41000004
	v_mfma_i32_16x16x32_i8 v[224:227], a[132:133], v[132:133], v[224:227]// 00000000CDC8: D3D700E0 0F830984
	v_mfma_i32_16x16x32_i8 v[224:227], a[134:135], v[134:135], v[224:227]// 00000000CDD0: D3D700E0 0F830D86
	ds_read_b32 v66, v4 offset:35872                           // 00000000CDD8: D86C8C20 42000004
	ds_read_b32 v67, v4 offset:40224                           // 00000000CDE0: D86C9D20 43000004
	v_mfma_i32_16x16x32_i8 v[224:227], a[136:137], v[136:137], v[224:227]// 00000000CDE8: D3D700E0 0F831188
	buffer_load_dwordx4 a[4:7], v48, s[12:15], 0 offen offset:1024// 00000000CDF0: E05C1400 80830430
	v_mfma_i32_16x16x32_i8 v[224:227], a[138:139], v[138:139], v[224:227]// 00000000CDF8: D3D700E0 0F83158A
	ds_read_b32 v68, v4 offset:35904                           // 00000000CE00: D86C8C40 44000004
	ds_read_b32 v69, v4 offset:40256                           // 00000000CE08: D86C9D40 45000004
	v_mfma_i32_16x16x32_i8 v[224:227], a[140:141], v[140:141], v[224:227]// 00000000CE10: D3D700E0 0F83198C
	v_mfma_i32_16x16x32_i8 v[224:227], a[142:143], v[142:143], v[224:227]// 00000000CE18: D3D700E0 0F831D8E
	ds_read_b32 v70, v4 offset:35936                           // 00000000CE20: D86C8C60 46000004
	ds_read_b32 v71, v4 offset:40288                           // 00000000CE28: D86C9D60 47000004
	v_mfma_i32_16x16x32_i8 v[228:231], a[128:129], v[160:161], 0// 00000000CE30: D3D700E4 0A034180
	buffer_load_dwordx4 a[8:11], v48, s[12:15], 0 offen offset:2048// 00000000CE38: E05C1800 80830830
	v_mfma_i32_16x16x32_i8 v[228:231], a[130:131], v[162:163], v[228:231]// 00000000CE40: D3D700E4 0F934582
	ds_read_b32 v72, v4 offset:44544                           // 00000000CE48: D86CAE00 48000004
	ds_read_b32 v73, v4 offset:48896                           // 00000000CE50: D86CBF00 49000004
	v_mfma_i32_16x16x32_i8 v[228:231], a[132:133], v[164:165], v[228:231]// 00000000CE58: D3D700E4 0F934984
	v_mfma_i32_16x16x32_i8 v[228:231], a[134:135], v[166:167], v[228:231]// 00000000CE60: D3D700E4 0F934D86
	ds_read_b32 v74, v4 offset:44576                           // 00000000CE68: D86CAE20 4A000004
	ds_read_b32 v75, v4 offset:48928                           // 00000000CE70: D86CBF20 4B000004
	v_mfma_i32_16x16x32_i8 v[228:231], a[136:137], v[168:169], v[228:231]// 00000000CE78: D3D700E4 0F935188
	buffer_load_dwordx4 a[12:15], v48, s[12:15], 0 offen offset:3072// 00000000CE80: E05C1C00 80830C30
	v_mfma_i32_16x16x32_i8 v[228:231], a[138:139], v[170:171], v[228:231]// 00000000CE88: D3D700E4 0F93558A
	ds_read_b32 v76, v4 offset:44608                           // 00000000CE90: D86CAE40 4C000004
	ds_read_b32 v77, v4 offset:48960                           // 00000000CE98: D86CBF40 4D000004
	v_mfma_i32_16x16x32_i8 v[228:231], a[140:141], v[172:173], v[228:231]// 00000000CEA0: D3D700E4 0F93598C
	v_mfma_i32_16x16x32_i8 v[228:231], a[142:143], v[174:175], v[228:231]// 00000000CEA8: D3D700E4 0F935D8E
	ds_read_b32 v78, v4 offset:44640                           // 00000000CEB0: D86CAE60 4E000004
	ds_read_b32 v79, v4 offset:48992                           // 00000000CEB8: D86CBF60 4F000004
	v_mfma_i32_16x16x32_i8 v[232:235], a[144:145], v[128:129], 0// 00000000CEC0: D3D700E8 0A030190
	buffer_load_dwordx4 a[16:19], v49, s[12:15], 0 offen       // 00000000CEC8: E05C1000 80831031
	v_mfma_i32_16x16x32_i8 v[232:235], a[146:147], v[130:131], v[232:235]// 00000000CED0: D3D700E8 0FA30592
	v_mfma_i32_16x16x32_i8 v[232:235], a[148:149], v[132:133], v[232:235]// 00000000CED8: D3D700E8 0FA30994
	v_mfma_i32_16x16x32_i8 v[232:235], a[150:151], v[134:135], v[232:235]// 00000000CEE0: D3D700E8 0FA30D96
	v_mfma_i32_16x16x32_i8 v[232:235], a[152:153], v[136:137], v[232:235]// 00000000CEE8: D3D700E8 0FA31198
	buffer_load_dwordx4 a[20:23], v49, s[12:15], 0 offen offset:1024// 00000000CEF0: E05C1400 80831431
	v_mfma_i32_16x16x32_i8 v[232:235], a[154:155], v[138:139], v[232:235]// 00000000CEF8: D3D700E8 0FA3159A
	v_mfma_i32_16x16x32_i8 v[232:235], a[156:157], v[140:141], v[232:235]// 00000000CF00: D3D700E8 0FA3199C
	v_mfma_i32_16x16x32_i8 v[232:235], a[158:159], v[142:143], v[232:235]// 00000000CF08: D3D700E8 0FA31D9E
	v_mfma_i32_16x16x32_i8 v[236:239], a[144:145], v[160:161], 0// 00000000CF10: D3D700EC 0A034190
	buffer_load_dwordx4 a[24:27], v49, s[12:15], 0 offen offset:2048// 00000000CF18: E05C1800 80831831
	v_mfma_i32_16x16x32_i8 v[236:239], a[146:147], v[162:163], v[236:239]// 00000000CF20: D3D700EC 0FB34592
	v_mfma_i32_16x16x32_i8 v[236:239], a[148:149], v[164:165], v[236:239]// 00000000CF28: D3D700EC 0FB34994
	v_mfma_i32_16x16x32_i8 v[236:239], a[150:151], v[166:167], v[236:239]// 00000000CF30: D3D700EC 0FB34D96
	v_mfma_i32_16x16x32_i8 v[236:239], a[152:153], v[168:169], v[236:239]// 00000000CF38: D3D700EC 0FB35198
	buffer_load_dwordx4 a[28:31], v49, s[12:15], 0 offen offset:3072// 00000000CF40: E05C1C00 80831C31
	v_mfma_i32_16x16x32_i8 v[236:239], a[154:155], v[170:171], v[236:239]// 00000000CF48: D3D700EC 0FB3559A
	v_mfma_i32_16x16x32_i8 v[236:239], a[156:157], v[172:173], v[236:239]// 00000000CF50: D3D700EC 0FB3599C
	v_mfma_i32_16x16x32_i8 v[236:239], a[158:159], v[174:175], v[236:239]// 00000000CF58: D3D700EC 0FB35D9E
	s_waitcnt vmcnt(25)                                        // 00000000CF60: BF8C4F79
	v_mfma_i32_16x16x32_i8 v[240:243], a[160:161], v[128:129], 0// 00000000CF64: D3D700F0 0A0301A0
	buffer_load_dwordx4 a[32:35], v50, s[12:15], 0 offen       // 00000000CF6C: E05C1000 80832032
	v_mfma_i32_16x16x32_i8 v[240:243], a[162:163], v[130:131], v[240:243]// 00000000CF74: D3D700F0 0FC305A2
	v_mfma_i32_16x16x32_i8 v[240:243], a[164:165], v[132:133], v[240:243]// 00000000CF7C: D3D700F0 0FC309A4
	v_mfma_i32_16x16x32_i8 v[240:243], a[166:167], v[134:135], v[240:243]// 00000000CF84: D3D700F0 0FC30DA6
	v_mfma_i32_16x16x32_i8 v[240:243], a[168:169], v[136:137], v[240:243]// 00000000CF8C: D3D700F0 0FC311A8
	buffer_load_dwordx4 a[36:39], v50, s[12:15], 0 offen offset:1024// 00000000CF94: E05C1400 80832432
	v_mfma_i32_16x16x32_i8 v[240:243], a[170:171], v[138:139], v[240:243]// 00000000CF9C: D3D700F0 0FC315AA
	v_mfma_i32_16x16x32_i8 v[240:243], a[172:173], v[140:141], v[240:243]// 00000000CFA4: D3D700F0 0FC319AC
	v_mfma_i32_16x16x32_i8 v[240:243], a[174:175], v[142:143], v[240:243]// 00000000CFAC: D3D700F0 0FC31DAE
	v_mfma_i32_16x16x32_i8 v[244:247], a[160:161], v[160:161], 0// 00000000CFB4: D3D700F4 0A0341A0
	buffer_load_dwordx4 a[40:43], v50, s[12:15], 0 offen offset:2048// 00000000CFBC: E05C1800 80832832
	v_mfma_i32_16x16x32_i8 v[244:247], a[162:163], v[162:163], v[244:247]// 00000000CFC4: D3D700F4 0FD345A2
	v_mfma_i32_16x16x32_i8 v[244:247], a[164:165], v[164:165], v[244:247]// 00000000CFCC: D3D700F4 0FD349A4
	v_mfma_i32_16x16x32_i8 v[244:247], a[166:167], v[166:167], v[244:247]// 00000000CFD4: D3D700F4 0FD34DA6
	v_mfma_i32_16x16x32_i8 v[244:247], a[168:169], v[168:169], v[244:247]// 00000000CFDC: D3D700F4 0FD351A8
	buffer_load_dwordx4 a[44:47], v50, s[12:15], 0 offen offset:3072// 00000000CFE4: E05C1C00 80832C32
	v_mfma_i32_16x16x32_i8 v[244:247], a[170:171], v[170:171], v[244:247]// 00000000CFEC: D3D700F4 0FD355AA
	v_mfma_i32_16x16x32_i8 v[244:247], a[172:173], v[172:173], v[244:247]// 00000000CFF4: D3D700F4 0FD359AC
	v_mfma_i32_16x16x32_i8 v[244:247], a[174:175], v[174:175], v[244:247]// 00000000CFFC: D3D700F4 0FD35DAE
	v_mfma_i32_16x16x32_i8 v[248:251], a[176:177], v[128:129], 0// 00000000D004: D3D700F8 0A0301B0
	buffer_load_dwordx4 a[48:51], v51, s[12:15], 0 offen       // 00000000D00C: E05C1000 80833033
	v_mfma_i32_16x16x32_i8 v[248:251], a[178:179], v[130:131], v[248:251]// 00000000D014: D3D700F8 0FE305B2
	v_mfma_i32_16x16x32_i8 v[248:251], a[180:181], v[132:133], v[248:251]// 00000000D01C: D3D700F8 0FE309B4
	v_mfma_i32_16x16x32_i8 v[248:251], a[182:183], v[134:135], v[248:251]// 00000000D024: D3D700F8 0FE30DB6
	v_mfma_i32_16x16x32_i8 v[248:251], a[184:185], v[136:137], v[248:251]// 00000000D02C: D3D700F8 0FE311B8
	buffer_load_dwordx4 a[52:55], v51, s[12:15], 0 offen offset:1024// 00000000D034: E05C1400 80833433
	v_mfma_i32_16x16x32_i8 v[248:251], a[186:187], v[138:139], v[248:251]// 00000000D03C: D3D700F8 0FE315BA
	v_mfma_i32_16x16x32_i8 v[248:251], a[188:189], v[140:141], v[248:251]// 00000000D044: D3D700F8 0FE319BC
	v_mfma_i32_16x16x32_i8 v[248:251], a[190:191], v[142:143], v[248:251]// 00000000D04C: D3D700F8 0FE31DBE
	v_mfma_i32_16x16x32_i8 v[252:255], a[176:177], v[160:161], 0// 00000000D054: D3D700FC 0A0341B0
	buffer_load_dwordx4 a[56:59], v51, s[12:15], 0 offen offset:2048// 00000000D05C: E05C1800 80833833
	v_mfma_i32_16x16x32_i8 v[252:255], a[178:179], v[162:163], v[252:255]// 00000000D064: D3D700FC 0FF345B2
	v_mfma_i32_16x16x32_i8 v[252:255], a[180:181], v[164:165], v[252:255]// 00000000D06C: D3D700FC 0FF349B4
	v_mfma_i32_16x16x32_i8 v[252:255], a[182:183], v[166:167], v[252:255]// 00000000D074: D3D700FC 0FF34DB6
	v_mfma_i32_16x16x32_i8 v[252:255], a[184:185], v[168:169], v[252:255]// 00000000D07C: D3D700FC 0FF351B8
	buffer_load_dwordx4 a[60:63], v51, s[12:15], 0 offen offset:3072// 00000000D084: E05C1C00 80833C33
	s_add_u32 s12, s78, s12                                    // 00000000D08C: 800C0C4E
	s_addc_u32 s13, 0, s13                                     // 00000000D090: 820D0D80
	v_mfma_i32_16x16x32_i8 v[252:255], a[186:187], v[170:171], v[252:255]// 00000000D094: D3D700FC 0FF355BA
	v_mfma_i32_16x16x32_i8 v[252:255], a[188:189], v[172:173], v[252:255]// 00000000D09C: D3D700FC 0FF359BC
	v_mfma_i32_16x16x32_i8 v[252:255], a[190:191], v[174:175], v[252:255]// 00000000D0A4: D3D700FC 0FF35DBE
	s_waitcnt vmcnt(25)                                        // 00000000D0AC: BF8C4F79
	v_mfma_i32_16x16x32_i8 v[224:227], a[192:193], v[144:145], v[224:227]// 00000000D0B0: D3D700E0 0F8321C0
	buffer_load_dwordx4 a[64:67], v48, s[12:15], 0 offen       // 00000000D0B8: E05C1000 80834030
	v_mfma_i32_16x16x32_i8 v[224:227], a[194:195], v[146:147], v[224:227]// 00000000D0C0: D3D700E0 0F8325C2
	ds_write_b64 v3, v[192:193] offset:18432                   // 00000000D0C8: D89A4800 0000C003
	v_mfma_i32_16x16x32_i8 v[224:227], a[196:197], v[148:149], v[224:227]// 00000000D0D0: D3D700E0 0F8329C4
	v_mfma_i32_16x16x32_i8 v[224:227], a[198:199], v[150:151], v[224:227]// 00000000D0D8: D3D700E0 0F832DC6
	ds_write_b64 v3, v[194:195] offset:27136                   // 00000000D0E0: D89A6A00 0000C203
	v_mfma_i32_16x16x32_i8 v[224:227], a[200:201], v[152:153], v[224:227]// 00000000D0E8: D3D700E0 0F8331C8
	buffer_load_dwordx4 a[68:71], v48, s[12:15], 0 offen offset:1024// 00000000D0F0: E05C1400 80834430
	v_mfma_i32_16x16x32_i8 v[224:227], a[202:203], v[154:155], v[224:227]// 00000000D0F8: D3D700E0 0F8335CA
	ds_write_b64 v3, v[196:197] offset:20608                   // 00000000D100: D89A5080 0000C403
	v_mfma_i32_16x16x32_i8 v[224:227], a[204:205], v[156:157], v[224:227]// 00000000D108: D3D700E0 0F8339CC
	v_mfma_i32_16x16x32_i8 v[224:227], a[206:207], v[158:159], v[224:227]// 00000000D110: D3D700E0 0F833DCE
	ds_write_b64 v3, v[198:199] offset:29312                   // 00000000D118: D89A7280 0000C603
	v_mfma_i32_16x16x32_i8 v[228:231], a[192:193], v[176:177], v[228:231]// 00000000D120: D3D700E4 0F9361C0
	buffer_load_dwordx4 a[72:75], v48, s[12:15], 0 offen offset:2048// 00000000D128: E05C1800 80834830
	v_mfma_i32_16x16x32_i8 v[228:231], a[194:195], v[178:179], v[228:231]// 00000000D130: D3D700E4 0F9365C2
	ds_write_b64 v3, v[200:201] offset:22784                   // 00000000D138: D89A5900 0000C803
	v_mfma_i32_16x16x32_i8 v[228:231], a[196:197], v[180:181], v[228:231]// 00000000D140: D3D700E4 0F9369C4
	v_mfma_i32_16x16x32_i8 v[228:231], a[198:199], v[182:183], v[228:231]// 00000000D148: D3D700E4 0F936DC6
	ds_write_b64 v3, v[202:203] offset:31488                   // 00000000D150: D89A7B00 0000CA03
	v_mfma_i32_16x16x32_i8 v[228:231], a[200:201], v[184:185], v[228:231]// 00000000D158: D3D700E4 0F9371C8
	buffer_load_dwordx4 a[76:79], v48, s[12:15], 0 offen offset:3072// 00000000D160: E05C1C00 80834C30
	v_mfma_i32_16x16x32_i8 v[228:231], a[202:203], v[186:187], v[228:231]// 00000000D168: D3D700E4 0F9375CA
	ds_write_b64 v3, v[204:205] offset:24960                   // 00000000D170: D89A6180 0000CC03
	v_mfma_i32_16x16x32_i8 v[228:231], a[204:205], v[188:189], v[228:231]// 00000000D178: D3D700E4 0F9379CC
	v_mfma_i32_16x16x32_i8 v[228:231], a[206:207], v[190:191], v[228:231]// 00000000D180: D3D700E4 0F937DCE
	ds_write_b64 v3, v[206:207] offset:33664                   // 00000000D188: D89A8380 0000CE03
	v_mfma_i32_16x16x32_i8 v[232:235], a[208:209], v[144:145], v[232:235]// 00000000D190: D3D700E8 0FA321D0
	buffer_load_dwordx4 a[80:83], v49, s[12:15], 0 offen       // 00000000D198: E05C1000 80835031
	v_mfma_i32_16x16x32_i8 v[232:235], a[210:211], v[146:147], v[232:235]// 00000000D1A0: D3D700E8 0FA325D2
	v_mfma_i32_16x16x32_i8 v[232:235], a[212:213], v[148:149], v[232:235]// 00000000D1A8: D3D700E8 0FA329D4
	v_mfma_i32_16x16x32_i8 v[232:235], a[214:215], v[150:151], v[232:235]// 00000000D1B0: D3D700E8 0FA32DD6
	v_mfma_i32_16x16x32_i8 v[232:235], a[216:217], v[152:153], v[232:235]// 00000000D1B8: D3D700E8 0FA331D8
	buffer_load_dwordx4 a[84:87], v49, s[12:15], 0 offen offset:1024// 00000000D1C0: E05C1400 80835431
	v_mfma_i32_16x16x32_i8 v[232:235], a[218:219], v[154:155], v[232:235]// 00000000D1C8: D3D700E8 0FA335DA
	v_mfma_i32_16x16x32_i8 v[232:235], a[220:221], v[156:157], v[232:235]// 00000000D1D0: D3D700E8 0FA339DC
	v_mfma_i32_16x16x32_i8 v[232:235], a[222:223], v[158:159], v[232:235]// 00000000D1D8: D3D700E8 0FA33DDE
	v_mfma_i32_16x16x32_i8 v[236:239], a[208:209], v[176:177], v[236:239]// 00000000D1E0: D3D700EC 0FB361D0
	buffer_load_dwordx4 a[88:91], v49, s[12:15], 0 offen offset:2048// 00000000D1E8: E05C1800 80835831
	v_mfma_i32_16x16x32_i8 v[236:239], a[210:211], v[178:179], v[236:239]// 00000000D1F0: D3D700EC 0FB365D2
	v_mfma_i32_16x16x32_i8 v[236:239], a[212:213], v[180:181], v[236:239]// 00000000D1F8: D3D700EC 0FB369D4
	v_mfma_i32_16x16x32_i8 v[236:239], a[214:215], v[182:183], v[236:239]// 00000000D200: D3D700EC 0FB36DD6
	v_mfma_i32_16x16x32_i8 v[236:239], a[216:217], v[184:185], v[236:239]// 00000000D208: D3D700EC 0FB371D8
	buffer_load_dwordx4 a[92:95], v49, s[12:15], 0 offen offset:3072// 00000000D210: E05C1C00 80835C31
	v_mfma_i32_16x16x32_i8 v[236:239], a[218:219], v[186:187], v[236:239]// 00000000D218: D3D700EC 0FB375DA
	v_mfma_i32_16x16x32_i8 v[236:239], a[220:221], v[188:189], v[236:239]// 00000000D220: D3D700EC 0FB379DC
	v_mfma_i32_16x16x32_i8 v[236:239], a[222:223], v[190:191], v[236:239]// 00000000D228: D3D700EC 0FB37DDE
	s_waitcnt vmcnt(24)                                        // 00000000D230: BF8C4F78
	v_mfma_i32_16x16x32_i8 v[240:243], a[224:225], v[144:145], v[240:243]// 00000000D234: D3D700F0 0FC321E0
	buffer_load_dwordx4 a[96:99], v50, s[12:15], 0 offen       // 00000000D23C: E05C1000 80836032
	v_mfma_i32_16x16x32_i8 v[240:243], a[226:227], v[146:147], v[240:243]// 00000000D244: D3D700F0 0FC325E2
	v_mfma_i32_16x16x32_i8 v[240:243], a[228:229], v[148:149], v[240:243]// 00000000D24C: D3D700F0 0FC329E4
	buffer_load_dword v12, v5, s[16:19], 0 offen               // 00000000D254: E0501000 80040C05
	v_mfma_i32_16x16x32_i8 v[240:243], a[230:231], v[150:151], v[240:243]// 00000000D25C: D3D700F0 0FC32DE6
	v_mfma_i32_16x16x32_i8 v[240:243], a[232:233], v[152:153], v[240:243]// 00000000D264: D3D700F0 0FC331E8
	buffer_load_dwordx4 a[100:103], v50, s[12:15], 0 offen offset:1024// 00000000D26C: E05C1400 80836432
	v_mfma_i32_16x16x32_i8 v[240:243], a[234:235], v[154:155], v[240:243]// 00000000D274: D3D700F0 0FC335EA
	v_mfma_i32_16x16x32_i8 v[240:243], a[236:237], v[156:157], v[240:243]// 00000000D27C: D3D700F0 0FC339EC
	v_mfma_i32_16x16x32_i8 v[240:243], a[238:239], v[158:159], v[240:243]// 00000000D284: D3D700F0 0FC33DEE
	v_mfma_i32_16x16x32_i8 v[244:247], a[224:225], v[176:177], v[244:247]// 00000000D28C: D3D700F4 0FD361E0
	buffer_load_dwordx4 a[104:107], v50, s[12:15], 0 offen offset:2048// 00000000D294: E05C1800 80836832
	v_mfma_i32_16x16x32_i8 v[244:247], a[226:227], v[178:179], v[244:247]// 00000000D29C: D3D700F4 0FD365E2
	v_mfma_i32_16x16x32_i8 v[244:247], a[228:229], v[180:181], v[244:247]// 00000000D2A4: D3D700F4 0FD369E4
	s_add_u32 s60, 0x200, s80                                  // 00000000D2AC: 803C50FF 00000200
	s_cmp_lt_u32 s60, s81                                      // 00000000D2B4: BF0A513C
	v_mfma_i32_16x16x32_i8 v[244:247], a[230:231], v[182:183], v[244:247]// 00000000D2B8: D3D700F4 0FD36DE6
	s_cselect_b32 s56, s56, 0                                  // 00000000D2C0: 85388038
	s_cselect_b32 s78, s78, 0                                  // 00000000D2C4: 854E804E
	s_cselect_b32 s79, s79, 0                                  // 00000000D2C8: 854F804F
	v_mfma_i32_16x16x32_i8 v[244:247], a[232:233], v[184:185], v[244:247]// 00000000D2CC: D3D700F4 0FD371E8
	buffer_load_dwordx4 a[108:111], v50, s[12:15], 0 offen offset:3072// 00000000D2D4: E05C1C00 80836C32
	v_mfma_i32_16x16x32_i8 v[244:247], a[234:235], v[186:187], v[244:247]// 00000000D2DC: D3D700F4 0FD375EA
	v_mfma_i32_16x16x32_i8 v[244:247], a[236:237], v[188:189], v[244:247]// 00000000D2E4: D3D700F4 0FD379EC
	s_add_u32 s16, s79, s16                                    // 00000000D2EC: 8010104F
	s_addc_u32 s17, 0, s17                                     // 00000000D2F0: 82111180
	v_mfma_i32_16x16x32_i8 v[244:247], a[238:239], v[190:191], v[244:247]// 00000000D2F4: D3D700F4 0FD37DEE
	v_mfma_i32_16x16x32_i8 v[248:251], a[240:241], v[144:145], v[248:251]// 00000000D2FC: D3D700F8 0FE321F0
	buffer_load_dwordx4 a[112:115], v51, s[12:15], 0 offen     // 00000000D304: E05C1000 80837033
	v_mfma_i32_16x16x32_i8 v[248:251], a[242:243], v[146:147], v[248:251]// 00000000D30C: D3D700F8 0FE325F2
	v_mfma_i32_16x16x32_i8 v[248:251], a[244:245], v[148:149], v[248:251]// 00000000D314: D3D700F8 0FE329F4
	v_mfma_i32_16x16x32_i8 v[248:251], a[246:247], v[150:151], v[248:251]// 00000000D31C: D3D700F8 0FE32DF6
	v_mfma_i32_16x16x32_i8 v[248:251], a[248:249], v[152:153], v[248:251]// 00000000D324: D3D700F8 0FE331F8
	buffer_load_dwordx4 a[116:119], v51, s[12:15], 0 offen offset:1024// 00000000D32C: E05C1400 80837433
	v_mfma_i32_16x16x32_i8 v[248:251], a[250:251], v[154:155], v[248:251]// 00000000D334: D3D700F8 0FE335FA
	v_mfma_i32_16x16x32_i8 v[248:251], a[252:253], v[156:157], v[248:251]// 00000000D33C: D3D700F8 0FE339FC
	v_mfma_i32_16x16x32_i8 v[248:251], a[254:255], v[158:159], v[248:251]// 00000000D344: D3D700F8 0FE33DFE
	v_mfma_i32_16x16x32_i8 v[252:255], a[240:241], v[176:177], v[252:255]// 00000000D34C: D3D700FC 0FF361F0
	buffer_load_dwordx4 a[120:123], v51, s[12:15], 0 offen offset:2048// 00000000D354: E05C1800 80837833
	v_mfma_i32_16x16x32_i8 v[252:255], a[242:243], v[178:179], v[252:255]// 00000000D35C: D3D700FC 0FF365F2
	v_mfma_i32_16x16x32_i8 v[252:255], a[244:245], v[180:181], v[252:255]// 00000000D364: D3D700FC 0FF369F4
	v_mfma_i32_16x16x32_i8 v[252:255], a[246:247], v[182:183], v[252:255]// 00000000D36C: D3D700FC 0FF36DF6
	v_mfma_i32_16x16x32_i8 v[252:255], a[248:249], v[184:185], v[252:255]// 00000000D374: D3D700FC 0FF371F8
	buffer_load_dwordx4 a[124:127], v51, s[12:15], 0 offen offset:3072// 00000000D37C: E05C1C00 80837C33
	v_mfma_i32_16x16x32_i8 v[252:255], a[250:251], v[186:187], v[252:255]// 00000000D384: D3D700FC 0FF375FA
	v_mfma_i32_16x16x32_i8 v[252:255], a[252:253], v[188:189], v[252:255]// 00000000D38C: D3D700FC 0FF379FC
	s_add_u32 s12, s56, s12                                    // 00000000D394: 800C0C38
	s_addc_u32 s13, 0, s13                                     // 00000000D398: 820D0D80
	v_mfma_i32_16x16x32_i8 v[252:255], a[254:255], v[190:191], v[252:255]// 00000000D39C: D3D700FC 0FF37DFE
	v_mov_b32_e32 v96, v24                                     // 00000000D3A4: 7EC00318
	v_mov_b32_e32 v100, v20                                    // 00000000D3A8: 7EC80314
	v_mov_b32_e32 v97, v24                                     // 00000000D3AC: 7EC20318
	v_mov_b32_e32 v101, v20                                    // 00000000D3B0: 7ECA0314
	v_mov_b32_e32 v98, v25                                     // 00000000D3B4: 7EC40319
	v_mov_b32_e32 v102, v21                                    // 00000000D3B8: 7ECC0315
	v_mov_b32_e32 v99, v25                                     // 00000000D3BC: 7EC60319
	v_mov_b32_e32 v103, v21                                    // 00000000D3C0: 7ECE0315
	v_cvt_f32_i32_e32 v224, v224                               // 00000000D3C4: 7FC00BE0
	v_cvt_f32_i32_e32 v225, v225                               // 00000000D3C8: 7FC20BE1
	v_cvt_f32_i32_e32 v226, v226                               // 00000000D3CC: 7FC40BE2
	v_cvt_f32_i32_e32 v227, v227                               // 00000000D3D0: 7FC60BE3
	v_pk_mul_f32 v[224:225], v[96:97], v[224:225]              // 00000000D3D4: D3B140E0 1803C160
	v_pk_mul_f32 v[226:227], v[96:97], v[226:227]              // 00000000D3DC: D3B140E2 1803C560
	v_mul_f32_dpp v224, v13, v224 row_newbcast:0 row_mask:0xf bank_mask:0xf// 00000000D3E4: 0BC1C0FA FF01500D
	v_mul_f32_dpp v225, v13, v225 row_newbcast:1 row_mask:0xf bank_mask:0xf// 00000000D3EC: 0BC3C2FA FF01510D
	v_mul_f32_dpp v226, v13, v226 row_newbcast:2 row_mask:0xf bank_mask:0xf// 00000000D3F4: 0BC5C4FA FF01520D
	v_mul_f32_dpp v227, v13, v227 row_newbcast:3 row_mask:0xf bank_mask:0xf// 00000000D3FC: 0BC7C6FA FF01530D
	v_pk_mul_f32 v[224:225], v[100:101], v[224:225]            // 00000000D404: D3B140E0 1803C164
	v_pk_mul_f32 v[226:227], v[100:101], v[226:227]            // 00000000D40C: D3B140E2 1803C564
	v_cvt_f32_i32_e32 v228, v228                               // 00000000D414: 7FC80BE4
	v_cvt_f32_i32_e32 v229, v229                               // 00000000D418: 7FCA0BE5
	v_cvt_f32_i32_e32 v230, v230                               // 00000000D41C: 7FCC0BE6
	v_cvt_f32_i32_e32 v231, v231                               // 00000000D420: 7FCE0BE7
	v_pk_mul_f32 v[228:229], v[98:99], v[228:229]              // 00000000D424: D3B140E4 1803C962
	v_pk_mul_f32 v[230:231], v[98:99], v[230:231]              // 00000000D42C: D3B140E6 1803CD62
	v_mul_f32_dpp v228, v13, v228 row_newbcast:0 row_mask:0xf bank_mask:0xf// 00000000D434: 0BC9C8FA FF01500D
	v_mul_f32_dpp v229, v13, v229 row_newbcast:1 row_mask:0xf bank_mask:0xf// 00000000D43C: 0BCBCAFA FF01510D
	v_mul_f32_dpp v230, v13, v230 row_newbcast:2 row_mask:0xf bank_mask:0xf// 00000000D444: 0BCDCCFA FF01520D
	v_mul_f32_dpp v231, v13, v231 row_newbcast:3 row_mask:0xf bank_mask:0xf// 00000000D44C: 0BCFCEFA FF01530D
	v_pk_mul_f32 v[228:229], v[102:103], v[228:229]            // 00000000D454: D3B140E4 1803C966
	v_pk_mul_f32 v[230:231], v[102:103], v[230:231]            // 00000000D45C: D3B140E6 1803CD66
	v_cvt_f32_i32_e32 v232, v232                               // 00000000D464: 7FD00BE8
	v_cvt_f32_i32_e32 v233, v233                               // 00000000D468: 7FD20BE9
	v_cvt_f32_i32_e32 v234, v234                               // 00000000D46C: 7FD40BEA
	v_cvt_f32_i32_e32 v235, v235                               // 00000000D470: 7FD60BEB
	v_pk_mul_f32 v[232:233], v[96:97], v[232:233]              // 00000000D474: D3B140E8 1803D160
	v_pk_mul_f32 v[234:235], v[96:97], v[234:235]              // 00000000D47C: D3B140EA 1803D560
	v_mul_f32_dpp v232, v13, v232 row_newbcast:4 row_mask:0xf bank_mask:0xf// 00000000D484: 0BD1D0FA FF01540D
	v_mul_f32_dpp v233, v13, v233 row_newbcast:5 row_mask:0xf bank_mask:0xf// 00000000D48C: 0BD3D2FA FF01550D
	v_mul_f32_dpp v234, v13, v234 row_newbcast:6 row_mask:0xf bank_mask:0xf// 00000000D494: 0BD5D4FA FF01560D
	v_mul_f32_dpp v235, v13, v235 row_newbcast:7 row_mask:0xf bank_mask:0xf// 00000000D49C: 0BD7D6FA FF01570D
	v_pk_mul_f32 v[232:233], v[100:101], v[232:233]            // 00000000D4A4: D3B140E8 1803D164
	v_pk_mul_f32 v[234:235], v[100:101], v[234:235]            // 00000000D4AC: D3B140EA 1803D564
	v_cvt_f32_i32_e32 v236, v236                               // 00000000D4B4: 7FD80BEC
	v_cvt_f32_i32_e32 v237, v237                               // 00000000D4B8: 7FDA0BED
	v_cvt_f32_i32_e32 v238, v238                               // 00000000D4BC: 7FDC0BEE
	v_cvt_f32_i32_e32 v239, v239                               // 00000000D4C0: 7FDE0BEF
	v_pk_mul_f32 v[236:237], v[98:99], v[236:237]              // 00000000D4C4: D3B140EC 1803D962
	v_pk_mul_f32 v[238:239], v[98:99], v[238:239]              // 00000000D4CC: D3B140EE 1803DD62
	v_mul_f32_dpp v236, v13, v236 row_newbcast:4 row_mask:0xf bank_mask:0xf// 00000000D4D4: 0BD9D8FA FF01540D
	v_mul_f32_dpp v237, v13, v237 row_newbcast:5 row_mask:0xf bank_mask:0xf// 00000000D4DC: 0BDBDAFA FF01550D
	v_mul_f32_dpp v238, v13, v238 row_newbcast:6 row_mask:0xf bank_mask:0xf// 00000000D4E4: 0BDDDCFA FF01560D
	v_mul_f32_dpp v239, v13, v239 row_newbcast:7 row_mask:0xf bank_mask:0xf// 00000000D4EC: 0BDFDEFA FF01570D
	v_pk_mul_f32 v[236:237], v[102:103], v[236:237]            // 00000000D4F4: D3B140EC 1803D966
	v_pk_mul_f32 v[238:239], v[102:103], v[238:239]            // 00000000D4FC: D3B140EE 1803DD66
	v_cvt_f32_i32_e32 v240, v240                               // 00000000D504: 7FE00BF0
	v_cvt_f32_i32_e32 v241, v241                               // 00000000D508: 7FE20BF1
	v_cvt_f32_i32_e32 v242, v242                               // 00000000D50C: 7FE40BF2
	v_cvt_f32_i32_e32 v243, v243                               // 00000000D510: 7FE60BF3
	v_pk_mul_f32 v[240:241], v[96:97], v[240:241]              // 00000000D514: D3B140F0 1803E160
	v_pk_mul_f32 v[242:243], v[96:97], v[242:243]              // 00000000D51C: D3B140F2 1803E560
	v_mul_f32_dpp v240, v13, v240 row_newbcast:8 row_mask:0xf bank_mask:0xf// 00000000D524: 0BE1E0FA FF01580D
	v_mul_f32_dpp v241, v13, v241 row_newbcast:9 row_mask:0xf bank_mask:0xf// 00000000D52C: 0BE3E2FA FF01590D
	v_mul_f32_dpp v242, v13, v242 row_newbcast:10 row_mask:0xf bank_mask:0xf// 00000000D534: 0BE5E4FA FF015A0D
	v_mul_f32_dpp v243, v13, v243 row_newbcast:11 row_mask:0xf bank_mask:0xf// 00000000D53C: 0BE7E6FA FF015B0D
	v_pk_mul_f32 v[240:241], v[100:101], v[240:241]            // 00000000D544: D3B140F0 1803E164
	v_pk_mul_f32 v[242:243], v[100:101], v[242:243]            // 00000000D54C: D3B140F2 1803E564
	v_cvt_f32_i32_e32 v244, v244                               // 00000000D554: 7FE80BF4
	v_cvt_f32_i32_e32 v245, v245                               // 00000000D558: 7FEA0BF5
	v_cvt_f32_i32_e32 v246, v246                               // 00000000D55C: 7FEC0BF6
	v_cvt_f32_i32_e32 v247, v247                               // 00000000D560: 7FEE0BF7
	v_pk_mul_f32 v[244:245], v[98:99], v[244:245]              // 00000000D564: D3B140F4 1803E962
	v_pk_mul_f32 v[246:247], v[98:99], v[246:247]              // 00000000D56C: D3B140F6 1803ED62
	v_mul_f32_dpp v244, v13, v244 row_newbcast:8 row_mask:0xf bank_mask:0xf// 00000000D574: 0BE9E8FA FF01580D
	v_mul_f32_dpp v245, v13, v245 row_newbcast:9 row_mask:0xf bank_mask:0xf// 00000000D57C: 0BEBEAFA FF01590D
	v_mul_f32_dpp v246, v13, v246 row_newbcast:10 row_mask:0xf bank_mask:0xf// 00000000D584: 0BEDECFA FF015A0D
	v_mul_f32_dpp v247, v13, v247 row_newbcast:11 row_mask:0xf bank_mask:0xf// 00000000D58C: 0BEFEEFA FF015B0D
	v_pk_mul_f32 v[244:245], v[102:103], v[244:245]            // 00000000D594: D3B140F4 1803E966
	v_pk_mul_f32 v[246:247], v[102:103], v[246:247]            // 00000000D59C: D3B140F6 1803ED66
	v_cvt_f32_i32_e32 v248, v248                               // 00000000D5A4: 7FF00BF8
	v_cvt_f32_i32_e32 v249, v249                               // 00000000D5A8: 7FF20BF9
	v_cvt_f32_i32_e32 v250, v250                               // 00000000D5AC: 7FF40BFA
	v_cvt_f32_i32_e32 v251, v251                               // 00000000D5B0: 7FF60BFB
	v_pk_mul_f32 v[248:249], v[96:97], v[248:249]              // 00000000D5B4: D3B140F8 1803F160
	v_pk_mul_f32 v[250:251], v[96:97], v[250:251]              // 00000000D5BC: D3B140FA 1803F560
	v_mul_f32_dpp v248, v13, v248 row_newbcast:12 row_mask:0xf bank_mask:0xf// 00000000D5C4: 0BF1F0FA FF015C0D
	v_mul_f32_dpp v249, v13, v249 row_newbcast:13 row_mask:0xf bank_mask:0xf// 00000000D5CC: 0BF3F2FA FF015D0D
	v_mul_f32_dpp v250, v13, v250 row_newbcast:14 row_mask:0xf bank_mask:0xf// 00000000D5D4: 0BF5F4FA FF015E0D
	v_mul_f32_dpp v251, v13, v251 row_newbcast:15 row_mask:0xf bank_mask:0xf// 00000000D5DC: 0BF7F6FA FF015F0D
	v_pk_mul_f32 v[248:249], v[100:101], v[248:249]            // 00000000D5E4: D3B140F8 1803F164
	v_pk_mul_f32 v[250:251], v[100:101], v[250:251]            // 00000000D5EC: D3B140FA 1803F564
	v_cvt_f32_i32_e32 v252, v252                               // 00000000D5F4: 7FF80BFC
	v_cvt_f32_i32_e32 v253, v253                               // 00000000D5F8: 7FFA0BFD
	v_cvt_f32_i32_e32 v254, v254                               // 00000000D5FC: 7FFC0BFE
	v_cvt_f32_i32_e32 v255, v255                               // 00000000D600: 7FFE0BFF
	v_pk_mul_f32 v[252:253], v[98:99], v[252:253]              // 00000000D604: D3B140FC 1803F962
	v_pk_mul_f32 v[254:255], v[98:99], v[254:255]              // 00000000D60C: D3B140FE 1803FD62
	v_mul_f32_dpp v252, v13, v252 row_newbcast:12 row_mask:0xf bank_mask:0xf// 00000000D614: 0BF9F8FA FF015C0D
	v_mul_f32_dpp v253, v13, v253 row_newbcast:13 row_mask:0xf bank_mask:0xf// 00000000D61C: 0BFBFAFA FF015D0D
	v_mul_f32_dpp v254, v13, v254 row_newbcast:14 row_mask:0xf bank_mask:0xf// 00000000D624: 0BFDFCFA FF015E0D
	v_mul_f32_dpp v255, v13, v255 row_newbcast:15 row_mask:0xf bank_mask:0xf// 00000000D62C: 0BFFFEFA FF015F0D
	v_pk_mul_f32 v[252:253], v[102:103], v[252:253]            // 00000000D634: D3B140FC 1803F966
	v_pk_mul_f32 v[254:255], v[102:103], v[254:255]            // 00000000D63C: D3B140FE 1803FD66
	v_cmp_u_f32_e64 s[48:49], v224, v224                       // 00000000D644: D0480030 0003C1E0
	v_add3_u32 v56, v224, v59, 1                               // 00000000D64C: D1FF0038 020677E0
	v_cndmask_b32_e64 v44, v56, v58, s[48:49]                  // 00000000D654: D100002C 00C27538
	v_cmp_u_f32_e64 s[48:49], v225, v225                       // 00000000D65C: D0480030 0003C3E1
	v_add3_u32 v56, v225, v59, 1                               // 00000000D664: D1FF0038 020677E1
	v_cndmask_b32_e64 v45, v56, v58, s[48:49]                  // 00000000D66C: D100002D 00C27538
	v_perm_b32 v224, v45, v44, s52                             // 00000000D674: D1ED00E0 00D2592D
	v_cmp_u_f32_e64 s[48:49], v226, v226                       // 00000000D67C: D0480030 0003C5E2
	v_add3_u32 v56, v226, v59, 1                               // 00000000D684: D1FF0038 020677E2
	v_cndmask_b32_e64 v44, v56, v58, s[48:49]                  // 00000000D68C: D100002C 00C27538
	v_cmp_u_f32_e64 s[48:49], v227, v227                       // 00000000D694: D0480030 0003C7E3
	v_add3_u32 v56, v227, v59, 1                               // 00000000D69C: D1FF0038 020677E3
	v_cndmask_b32_e64 v45, v56, v58, s[48:49]                  // 00000000D6A4: D100002D 00C27538
	v_perm_b32 v225, v45, v44, s52                             // 00000000D6AC: D1ED00E1 00D2592D
	v_cmp_u_f32_e64 s[48:49], v228, v228                       // 00000000D6B4: D0480030 0003C9E4
	v_add3_u32 v56, v228, v59, 1                               // 00000000D6BC: D1FF0038 020677E4
	v_cndmask_b32_e64 v44, v56, v58, s[48:49]                  // 00000000D6C4: D100002C 00C27538
	v_cmp_u_f32_e64 s[48:49], v229, v229                       // 00000000D6CC: D0480030 0003CBE5
	v_add3_u32 v56, v229, v59, 1                               // 00000000D6D4: D1FF0038 020677E5
	v_cndmask_b32_e64 v45, v56, v58, s[48:49]                  // 00000000D6DC: D100002D 00C27538
	v_perm_b32 v226, v45, v44, s52                             // 00000000D6E4: D1ED00E2 00D2592D
	v_cmp_u_f32_e64 s[48:49], v230, v230                       // 00000000D6EC: D0480030 0003CDE6
	v_add3_u32 v56, v230, v59, 1                               // 00000000D6F4: D1FF0038 020677E6
	v_cndmask_b32_e64 v44, v56, v58, s[48:49]                  // 00000000D6FC: D100002C 00C27538
	v_cmp_u_f32_e64 s[48:49], v231, v231                       // 00000000D704: D0480030 0003CFE7
	v_add3_u32 v56, v231, v59, 1                               // 00000000D70C: D1FF0038 020677E7
	v_cndmask_b32_e64 v45, v56, v58, s[48:49]                  // 00000000D714: D100002D 00C27538
	v_perm_b32 v227, v45, v44, s52                             // 00000000D71C: D1ED00E3 00D2592D
	v_cmp_u_f32_e64 s[48:49], v232, v232                       // 00000000D724: D0480030 0003D1E8
	v_add3_u32 v56, v232, v59, 1                               // 00000000D72C: D1FF0038 020677E8
	v_cndmask_b32_e64 v44, v56, v58, s[48:49]                  // 00000000D734: D100002C 00C27538
	v_cmp_u_f32_e64 s[48:49], v233, v233                       // 00000000D73C: D0480030 0003D3E9
	v_add3_u32 v56, v233, v59, 1                               // 00000000D744: D1FF0038 020677E9
	v_cndmask_b32_e64 v45, v56, v58, s[48:49]                  // 00000000D74C: D100002D 00C27538
	v_perm_b32 v228, v45, v44, s52                             // 00000000D754: D1ED00E4 00D2592D
	v_cmp_u_f32_e64 s[48:49], v234, v234                       // 00000000D75C: D0480030 0003D5EA
	v_add3_u32 v56, v234, v59, 1                               // 00000000D764: D1FF0038 020677EA
	v_cndmask_b32_e64 v44, v56, v58, s[48:49]                  // 00000000D76C: D100002C 00C27538
	v_cmp_u_f32_e64 s[48:49], v235, v235                       // 00000000D774: D0480030 0003D7EB
	v_add3_u32 v56, v235, v59, 1                               // 00000000D77C: D1FF0038 020677EB
	v_cndmask_b32_e64 v45, v56, v58, s[48:49]                  // 00000000D784: D100002D 00C27538
	v_perm_b32 v229, v45, v44, s52                             // 00000000D78C: D1ED00E5 00D2592D
	v_cmp_u_f32_e64 s[48:49], v236, v236                       // 00000000D794: D0480030 0003D9EC
	v_add3_u32 v56, v236, v59, 1                               // 00000000D79C: D1FF0038 020677EC
	v_cndmask_b32_e64 v44, v56, v58, s[48:49]                  // 00000000D7A4: D100002C 00C27538
	v_cmp_u_f32_e64 s[48:49], v237, v237                       // 00000000D7AC: D0480030 0003DBED
	v_add3_u32 v56, v237, v59, 1                               // 00000000D7B4: D1FF0038 020677ED
	v_cndmask_b32_e64 v45, v56, v58, s[48:49]                  // 00000000D7BC: D100002D 00C27538
	v_perm_b32 v230, v45, v44, s52                             // 00000000D7C4: D1ED00E6 00D2592D
	v_cmp_u_f32_e64 s[48:49], v238, v238                       // 00000000D7CC: D0480030 0003DDEE
	v_add3_u32 v56, v238, v59, 1                               // 00000000D7D4: D1FF0038 020677EE
	v_cndmask_b32_e64 v44, v56, v58, s[48:49]                  // 00000000D7DC: D100002C 00C27538
	v_cmp_u_f32_e64 s[48:49], v239, v239                       // 00000000D7E4: D0480030 0003DFEF
	v_add3_u32 v56, v239, v59, 1                               // 00000000D7EC: D1FF0038 020677EF
	v_cndmask_b32_e64 v45, v56, v58, s[48:49]                  // 00000000D7F4: D100002D 00C27538
	v_perm_b32 v231, v45, v44, s52                             // 00000000D7FC: D1ED00E7 00D2592D
	v_cmp_u_f32_e64 s[48:49], v240, v240                       // 00000000D804: D0480030 0003E1F0
	v_add3_u32 v56, v240, v59, 1                               // 00000000D80C: D1FF0038 020677F0
	v_cndmask_b32_e64 v44, v56, v58, s[48:49]                  // 00000000D814: D100002C 00C27538
	v_cmp_u_f32_e64 s[48:49], v241, v241                       // 00000000D81C: D0480030 0003E3F1
	v_add3_u32 v56, v241, v59, 1                               // 00000000D824: D1FF0038 020677F1
	v_cndmask_b32_e64 v45, v56, v58, s[48:49]                  // 00000000D82C: D100002D 00C27538
	v_perm_b32 v232, v45, v44, s52                             // 00000000D834: D1ED00E8 00D2592D
	v_cmp_u_f32_e64 s[48:49], v242, v242                       // 00000000D83C: D0480030 0003E5F2
	v_add3_u32 v56, v242, v59, 1                               // 00000000D844: D1FF0038 020677F2
	v_cndmask_b32_e64 v44, v56, v58, s[48:49]                  // 00000000D84C: D100002C 00C27538
	v_cmp_u_f32_e64 s[48:49], v243, v243                       // 00000000D854: D0480030 0003E7F3
	v_add3_u32 v56, v243, v59, 1                               // 00000000D85C: D1FF0038 020677F3
	v_cndmask_b32_e64 v45, v56, v58, s[48:49]                  // 00000000D864: D100002D 00C27538
	v_perm_b32 v233, v45, v44, s52                             // 00000000D86C: D1ED00E9 00D2592D
	v_cmp_u_f32_e64 s[48:49], v244, v244                       // 00000000D874: D0480030 0003E9F4
	v_add3_u32 v56, v244, v59, 1                               // 00000000D87C: D1FF0038 020677F4
	v_cndmask_b32_e64 v44, v56, v58, s[48:49]                  // 00000000D884: D100002C 00C27538
	v_cmp_u_f32_e64 s[48:49], v245, v245                       // 00000000D88C: D0480030 0003EBF5
	v_add3_u32 v56, v245, v59, 1                               // 00000000D894: D1FF0038 020677F5
	v_cndmask_b32_e64 v45, v56, v58, s[48:49]                  // 00000000D89C: D100002D 00C27538
	v_perm_b32 v234, v45, v44, s52                             // 00000000D8A4: D1ED00EA 00D2592D
	v_cmp_u_f32_e64 s[48:49], v246, v246                       // 00000000D8AC: D0480030 0003EDF6
	v_add3_u32 v56, v246, v59, 1                               // 00000000D8B4: D1FF0038 020677F6
	v_cndmask_b32_e64 v44, v56, v58, s[48:49]                  // 00000000D8BC: D100002C 00C27538
	v_cmp_u_f32_e64 s[48:49], v247, v247                       // 00000000D8C4: D0480030 0003EFF7
	v_add3_u32 v56, v247, v59, 1                               // 00000000D8CC: D1FF0038 020677F7
	v_cndmask_b32_e64 v45, v56, v58, s[48:49]                  // 00000000D8D4: D100002D 00C27538
	v_perm_b32 v235, v45, v44, s52                             // 00000000D8DC: D1ED00EB 00D2592D
	v_cmp_u_f32_e64 s[48:49], v248, v248                       // 00000000D8E4: D0480030 0003F1F8
	v_add3_u32 v56, v248, v59, 1                               // 00000000D8EC: D1FF0038 020677F8
	v_cndmask_b32_e64 v44, v56, v58, s[48:49]                  // 00000000D8F4: D100002C 00C27538
	v_cmp_u_f32_e64 s[48:49], v249, v249                       // 00000000D8FC: D0480030 0003F3F9
	v_add3_u32 v56, v249, v59, 1                               // 00000000D904: D1FF0038 020677F9
	v_cndmask_b32_e64 v45, v56, v58, s[48:49]                  // 00000000D90C: D100002D 00C27538
	v_perm_b32 v236, v45, v44, s52                             // 00000000D914: D1ED00EC 00D2592D
	v_cmp_u_f32_e64 s[48:49], v250, v250                       // 00000000D91C: D0480030 0003F5FA
	v_add3_u32 v56, v250, v59, 1                               // 00000000D924: D1FF0038 020677FA
	v_cndmask_b32_e64 v44, v56, v58, s[48:49]                  // 00000000D92C: D100002C 00C27538
	v_cmp_u_f32_e64 s[48:49], v251, v251                       // 00000000D934: D0480030 0003F7FB
	v_add3_u32 v56, v251, v59, 1                               // 00000000D93C: D1FF0038 020677FB
	v_cndmask_b32_e64 v45, v56, v58, s[48:49]                  // 00000000D944: D100002D 00C27538
	v_perm_b32 v237, v45, v44, s52                             // 00000000D94C: D1ED00ED 00D2592D
	v_cmp_u_f32_e64 s[48:49], v252, v252                       // 00000000D954: D0480030 0003F9FC
	v_add3_u32 v56, v252, v59, 1                               // 00000000D95C: D1FF0038 020677FC
	v_cndmask_b32_e64 v44, v56, v58, s[48:49]                  // 00000000D964: D100002C 00C27538
	v_cmp_u_f32_e64 s[48:49], v253, v253                       // 00000000D96C: D0480030 0003FBFD
	v_add3_u32 v56, v253, v59, 1                               // 00000000D974: D1FF0038 020677FD
	v_cndmask_b32_e64 v45, v56, v58, s[48:49]                  // 00000000D97C: D100002D 00C27538
	v_perm_b32 v238, v45, v44, s52                             // 00000000D984: D1ED00EE 00D2592D
	v_cmp_u_f32_e64 s[48:49], v254, v254                       // 00000000D98C: D0480030 0003FDFE
	v_add3_u32 v56, v254, v59, 1                               // 00000000D994: D1FF0038 020677FE
	v_cndmask_b32_e64 v44, v56, v58, s[48:49]                  // 00000000D99C: D100002C 00C27538
	v_cmp_u_f32_e64 s[48:49], v255, v255                       // 00000000D9A4: D0480030 0003FFFF
	v_add3_u32 v56, v255, v59, 1                               // 00000000D9AC: D1FF0038 020677FF
	v_cndmask_b32_e64 v45, v56, v58, s[48:49]                  // 00000000D9B4: D100002D 00C27538
	v_perm_b32 v239, v45, v44, s52                             // 00000000D9BC: D1ED00EF 00D2592D
	s_setvskip s20, 0                                          // 00000000D9C4: BF108014
	global_atomic_pk_add_bf16 v80, v64, s[8:9]                 // 00000000D9C8: DD488000 00084050
	s_setvskip 0, 0                                            // 00000000D9D0: BF108080
	s_setvskip s20, 0                                          // 00000000D9D4: BF108014
	global_atomic_pk_add_bf16 v80, v65, s[8:9] offset:256      // 00000000D9D8: DD488100 00084150
	s_setvskip 0, 0                                            // 00000000D9E0: BF108080
	s_setvskip s20, 1                                          // 00000000D9E4: BF108114
	global_atomic_pk_add_bf16 v82, v66, s[8:9]                 // 00000000D9E8: DD488000 00084252
	s_setvskip 0, 0                                            // 00000000D9F0: BF108080
	s_setvskip s20, 1                                          // 00000000D9F4: BF108114
	global_atomic_pk_add_bf16 v82, v67, s[8:9] offset:256      // 00000000D9F8: DD488100 00084352
	s_setvskip 0, 0                                            // 00000000DA00: BF108080
	s_setvskip s20, 2                                          // 00000000DA04: BF108214
	global_atomic_pk_add_bf16 v84, v68, s[8:9]                 // 00000000DA08: DD488000 00084454
	s_setvskip 0, 0                                            // 00000000DA10: BF108080
	s_setvskip s20, 2                                          // 00000000DA14: BF108214
	global_atomic_pk_add_bf16 v84, v69, s[8:9] offset:256      // 00000000DA18: DD488100 00084554
	s_setvskip 0, 0                                            // 00000000DA20: BF108080
	s_setvskip s20, 3                                          // 00000000DA24: BF108314
	global_atomic_pk_add_bf16 v86, v70, s[8:9]                 // 00000000DA28: DD488000 00084656
	s_setvskip 0, 0                                            // 00000000DA30: BF108080
	s_setvskip s20, 3                                          // 00000000DA34: BF108314
	global_atomic_pk_add_bf16 v86, v71, s[8:9] offset:256      // 00000000DA38: DD488100 00084756
	s_setvskip 0, 0                                            // 00000000DA40: BF108080
	s_setvskip s20, 4                                          // 00000000DA44: BF108414
	global_atomic_pk_add_bf16 v88, v72, s[8:9]                 // 00000000DA48: DD488000 00084858
	s_setvskip 0, 0                                            // 00000000DA50: BF108080
	s_setvskip s20, 4                                          // 00000000DA54: BF108414
	global_atomic_pk_add_bf16 v88, v73, s[8:9] offset:256      // 00000000DA58: DD488100 00084958
	s_setvskip 0, 0                                            // 00000000DA60: BF108080
	s_setvskip s20, 5                                          // 00000000DA64: BF108514
	global_atomic_pk_add_bf16 v90, v74, s[8:9]                 // 00000000DA68: DD488000 00084A5A
	s_setvskip 0, 0                                            // 00000000DA70: BF108080
	s_setvskip s20, 5                                          // 00000000DA74: BF108514
	global_atomic_pk_add_bf16 v90, v75, s[8:9] offset:256      // 00000000DA78: DD488100 00084B5A
	s_setvskip 0, 0                                            // 00000000DA80: BF108080
	s_setvskip s20, 6                                          // 00000000DA84: BF108614
	global_atomic_pk_add_bf16 v92, v76, s[8:9]                 // 00000000DA88: DD488000 00084C5C
	s_setvskip 0, 0                                            // 00000000DA90: BF108080
	s_setvskip s20, 6                                          // 00000000DA94: BF108614
	global_atomic_pk_add_bf16 v92, v77, s[8:9] offset:256      // 00000000DA98: DD488100 00084D5C
	s_setvskip 0, 0                                            // 00000000DAA0: BF108080
	s_setvskip s20, 7                                          // 00000000DAA4: BF108714
	global_atomic_pk_add_bf16 v94, v78, s[8:9]                 // 00000000DAA8: DD488000 00084E5E
	s_setvskip 0, 0                                            // 00000000DAB0: BF108080
	s_setvskip s20, 7                                          // 00000000DAB4: BF108714
	global_atomic_pk_add_bf16 v94, v79, s[8:9] offset:256      // 00000000DAB8: DD488100 00084F5E
	s_setvskip 0, 0                                            // 00000000DAC0: BF108080
	s_cmp_ge_u32 s80, 0x200                                    // 00000000DAC4: BF09FF50 00000200
	s_cselect_b32 s59, 0x200, s59                              // 00000000DACC: 853B3BFF 00000200
	s_add_u32 s8, s59, s8                                      // 00000000DAD4: 8008083B
	s_addc_u32 s9, 0, s9                                       // 00000000DAD8: 82090980
	s_addk_i32 s80, 0x100                                      // 00000000DADC: B7500100
	s_cmp_lt_i32 s80, s81                                      // 00000000DAE0: BF045150
	s_cbranch_scc0 label_17FA                                  // 00000000DAE4: BF84EC00
	s_branch label_2552                                        // 00000000DAE8: BF82F957

000000000000daec <label_2BFB>:
	s_waitcnt lgkmcnt(0)                                       // 00000000DAEC: BF8CC07F
	s_barrier                                                  // 00000000DAF0: BF8A0000
	ds_read_b32 v64, v4 offset:18432                           // 00000000DAF4: D86C4800 40000004
	ds_read_b32 v65, v4 offset:22784                           // 00000000DAFC: D86C5900 41000004
	ds_read_b32 v66, v4 offset:18464                           // 00000000DB04: D86C4820 42000004
	ds_read_b32 v67, v4 offset:22816                           // 00000000DB0C: D86C5920 43000004
	ds_read_b32 v68, v4 offset:18496                           // 00000000DB14: D86C4840 44000004
	ds_read_b32 v69, v4 offset:22848                           // 00000000DB1C: D86C5940 45000004
	ds_read_b32 v70, v4 offset:18528                           // 00000000DB24: D86C4860 46000004
	ds_read_b32 v71, v4 offset:22880                           // 00000000DB2C: D86C5960 47000004
	ds_read_b32 v72, v4 offset:27136                           // 00000000DB34: D86C6A00 48000004
	ds_read_b32 v73, v4 offset:31488                           // 00000000DB3C: D86C7B00 49000004
	ds_read_b32 v74, v4 offset:27168                           // 00000000DB44: D86C6A20 4A000004
	ds_read_b32 v75, v4 offset:31520                           // 00000000DB4C: D86C7B20 4B000004
	ds_read_b32 v76, v4 offset:27200                           // 00000000DB54: D86C6A40 4C000004
	ds_read_b32 v77, v4 offset:31552                           // 00000000DB5C: D86C7B40 4D000004
	ds_read_b32 v78, v4 offset:27232                           // 00000000DB64: D86C6A60 4E000004
	ds_read_b32 v79, v4 offset:31584                           // 00000000DB6C: D86C7B60 4F000004
	s_waitcnt lgkmcnt(0)                                       // 00000000DB74: BF8CC07F
	s_setvskip s20, 0                                          // 00000000DB78: BF108014
	global_atomic_pk_add_bf16 v80, v64, s[8:9]                 // 00000000DB7C: DD488000 00084050
	s_setvskip 0, 0                                            // 00000000DB84: BF108080
	s_setvskip s20, 0                                          // 00000000DB88: BF108014
	global_atomic_pk_add_bf16 v80, v65, s[8:9] offset:256      // 00000000DB8C: DD488100 00084150
	s_setvskip 0, 0                                            // 00000000DB94: BF108080
	s_setvskip s20, 1                                          // 00000000DB98: BF108114
	global_atomic_pk_add_bf16 v82, v66, s[8:9]                 // 00000000DB9C: DD488000 00084252
	s_setvskip 0, 0                                            // 00000000DBA4: BF108080
	s_setvskip s20, 1                                          // 00000000DBA8: BF108114
	global_atomic_pk_add_bf16 v82, v67, s[8:9] offset:256      // 00000000DBAC: DD488100 00084352
	s_setvskip 0, 0                                            // 00000000DBB4: BF108080
	s_setvskip s20, 2                                          // 00000000DBB8: BF108214
	global_atomic_pk_add_bf16 v84, v68, s[8:9]                 // 00000000DBBC: DD488000 00084454
	s_setvskip 0, 0                                            // 00000000DBC4: BF108080
	s_setvskip s20, 2                                          // 00000000DBC8: BF108214
	global_atomic_pk_add_bf16 v84, v69, s[8:9] offset:256      // 00000000DBCC: DD488100 00084554
	s_setvskip 0, 0                                            // 00000000DBD4: BF108080
	s_setvskip s20, 3                                          // 00000000DBD8: BF108314
	global_atomic_pk_add_bf16 v86, v70, s[8:9]                 // 00000000DBDC: DD488000 00084656
	s_setvskip 0, 0                                            // 00000000DBE4: BF108080
	s_setvskip s20, 3                                          // 00000000DBE8: BF108314
	global_atomic_pk_add_bf16 v86, v71, s[8:9] offset:256      // 00000000DBEC: DD488100 00084756
	s_setvskip 0, 0                                            // 00000000DBF4: BF108080
	s_setvskip s20, 4                                          // 00000000DBF8: BF108414
	global_atomic_pk_add_bf16 v88, v72, s[8:9]                 // 00000000DBFC: DD488000 00084858
	s_setvskip 0, 0                                            // 00000000DC04: BF108080
	s_setvskip s20, 4                                          // 00000000DC08: BF108414
	global_atomic_pk_add_bf16 v88, v73, s[8:9] offset:256      // 00000000DC0C: DD488100 00084958
	s_setvskip 0, 0                                            // 00000000DC14: BF108080
	s_setvskip s20, 5                                          // 00000000DC18: BF108514
	global_atomic_pk_add_bf16 v90, v74, s[8:9]                 // 00000000DC1C: DD488000 00084A5A
	s_setvskip 0, 0                                            // 00000000DC24: BF108080
	s_setvskip s20, 5                                          // 00000000DC28: BF108514
	global_atomic_pk_add_bf16 v90, v75, s[8:9] offset:256      // 00000000DC2C: DD488100 00084B5A
	s_setvskip 0, 0                                            // 00000000DC34: BF108080
	s_setvskip s20, 6                                          // 00000000DC38: BF108614
	global_atomic_pk_add_bf16 v92, v76, s[8:9]                 // 00000000DC3C: DD488000 00084C5C
	s_setvskip 0, 0                                            // 00000000DC44: BF108080
	s_setvskip s20, 6                                          // 00000000DC48: BF108614
	global_atomic_pk_add_bf16 v92, v77, s[8:9] offset:256      // 00000000DC4C: DD488100 00084D5C
	s_setvskip 0, 0                                            // 00000000DC54: BF108080
	s_setvskip s20, 7                                          // 00000000DC58: BF108714
	global_atomic_pk_add_bf16 v94, v78, s[8:9]                 // 00000000DC5C: DD488000 00084E5E
	s_setvskip 0, 0                                            // 00000000DC64: BF108080
	s_setvskip s20, 7                                          // 00000000DC68: BF108714
	global_atomic_pk_add_bf16 v94, v79, s[8:9] offset:256      // 00000000DC6C: DD488100 00084F5E
	s_setvskip 0, 0                                            // 00000000DC74: BF108080
	s_mov_b32 s59, 0x200                                       // 00000000DC78: BEBB00FF 00000200
	s_add_u32 s8, s59, s8                                      // 00000000DC80: 8008083B
	s_addc_u32 s9, 0, s9                                       // 00000000DC84: 82090980
	ds_write_b64 v3, v[224:225] offset:35840                   // 00000000DC88: D89A8C00 0000E003
	ds_write_b64 v3, v[226:227] offset:44544                   // 00000000DC90: D89AAE00 0000E203
	ds_write_b64 v3, v[228:229] offset:38016                   // 00000000DC98: D89A9480 0000E403
	ds_write_b64 v3, v[230:231] offset:46720                   // 00000000DCA0: D89AB680 0000E603
	ds_write_b64 v3, v[232:233] offset:40192                   // 00000000DCA8: D89A9D00 0000E803
	ds_write_b64 v3, v[234:235] offset:48896                   // 00000000DCB0: D89ABF00 0000EA03
	ds_write_b64 v3, v[236:237] offset:42368                   // 00000000DCB8: D89AA580 0000EC03
	ds_write_b64 v3, v[238:239] offset:51072                   // 00000000DCC0: D89AC780 0000EE03
	s_waitcnt lgkmcnt(0)                                       // 00000000DCC8: BF8CC07F
	s_barrier                                                  // 00000000DCCC: BF8A0000
	ds_read_b32 v64, v4 offset:35840                           // 00000000DCD0: D86C8C00 40000004
	ds_read_b32 v65, v4 offset:40192                           // 00000000DCD8: D86C9D00 41000004
	ds_read_b32 v66, v4 offset:35872                           // 00000000DCE0: D86C8C20 42000004
	ds_read_b32 v67, v4 offset:40224                           // 00000000DCE8: D86C9D20 43000004
	ds_read_b32 v68, v4 offset:35904                           // 00000000DCF0: D86C8C40 44000004
	ds_read_b32 v69, v4 offset:40256                           // 00000000DCF8: D86C9D40 45000004
	ds_read_b32 v70, v4 offset:35936                           // 00000000DD00: D86C8C60 46000004
	ds_read_b32 v71, v4 offset:40288                           // 00000000DD08: D86C9D60 47000004
	ds_read_b32 v72, v4 offset:44544                           // 00000000DD10: D86CAE00 48000004
	ds_read_b32 v73, v4 offset:48896                           // 00000000DD18: D86CBF00 49000004
	ds_read_b32 v74, v4 offset:44576                           // 00000000DD20: D86CAE20 4A000004
	ds_read_b32 v75, v4 offset:48928                           // 00000000DD28: D86CBF20 4B000004
	ds_read_b32 v76, v4 offset:44608                           // 00000000DD30: D86CAE40 4C000004
	ds_read_b32 v77, v4 offset:48960                           // 00000000DD38: D86CBF40 4D000004
	ds_read_b32 v78, v4 offset:44640                           // 00000000DD40: D86CAE60 4E000004
	ds_read_b32 v79, v4 offset:48992                           // 00000000DD48: D86CBF60 4F000004
	s_waitcnt lgkmcnt(0)                                       // 00000000DD50: BF8CC07F
	s_setvskip s20, 0                                          // 00000000DD54: BF108014
	global_atomic_pk_add_bf16 v80, v64, s[8:9]                 // 00000000DD58: DD488000 00084050
	s_setvskip 0, 0                                            // 00000000DD60: BF108080
	s_setvskip s20, 0                                          // 00000000DD64: BF108014
	global_atomic_pk_add_bf16 v80, v65, s[8:9] offset:256      // 00000000DD68: DD488100 00084150
	s_setvskip 0, 0                                            // 00000000DD70: BF108080
	s_setvskip s20, 1                                          // 00000000DD74: BF108114
	global_atomic_pk_add_bf16 v82, v66, s[8:9]                 // 00000000DD78: DD488000 00084252
	s_setvskip 0, 0                                            // 00000000DD80: BF108080
	s_setvskip s20, 1                                          // 00000000DD84: BF108114
	global_atomic_pk_add_bf16 v82, v67, s[8:9] offset:256      // 00000000DD88: DD488100 00084352
	s_setvskip 0, 0                                            // 00000000DD90: BF108080
	s_setvskip s20, 2                                          // 00000000DD94: BF108214
	global_atomic_pk_add_bf16 v84, v68, s[8:9]                 // 00000000DD98: DD488000 00084454
	s_setvskip 0, 0                                            // 00000000DDA0: BF108080
	s_setvskip s20, 2                                          // 00000000DDA4: BF108214
	global_atomic_pk_add_bf16 v84, v69, s[8:9] offset:256      // 00000000DDA8: DD488100 00084554
	s_setvskip 0, 0                                            // 00000000DDB0: BF108080
	s_setvskip s20, 3                                          // 00000000DDB4: BF108314
	global_atomic_pk_add_bf16 v86, v70, s[8:9]                 // 00000000DDB8: DD488000 00084656
	s_setvskip 0, 0                                            // 00000000DDC0: BF108080
	s_setvskip s20, 3                                          // 00000000DDC4: BF108314
	global_atomic_pk_add_bf16 v86, v71, s[8:9] offset:256      // 00000000DDC8: DD488100 00084756
	s_setvskip 0, 0                                            // 00000000DDD0: BF108080
	s_setvskip s20, 4                                          // 00000000DDD4: BF108414
	global_atomic_pk_add_bf16 v88, v72, s[8:9]                 // 00000000DDD8: DD488000 00084858
	s_setvskip 0, 0                                            // 00000000DDE0: BF108080
	s_setvskip s20, 4                                          // 00000000DDE4: BF108414
	global_atomic_pk_add_bf16 v88, v73, s[8:9] offset:256      // 00000000DDE8: DD488100 00084958
	s_setvskip 0, 0                                            // 00000000DDF0: BF108080
	s_setvskip s20, 5                                          // 00000000DDF4: BF108514
	global_atomic_pk_add_bf16 v90, v74, s[8:9]                 // 00000000DDF8: DD488000 00084A5A
	s_setvskip 0, 0                                            // 00000000DE00: BF108080
	s_setvskip s20, 5                                          // 00000000DE04: BF108514
	global_atomic_pk_add_bf16 v90, v75, s[8:9] offset:256      // 00000000DE08: DD488100 00084B5A
	s_setvskip 0, 0                                            // 00000000DE10: BF108080
	s_setvskip s20, 6                                          // 00000000DE14: BF108614
	global_atomic_pk_add_bf16 v92, v76, s[8:9]                 // 00000000DE18: DD488000 00084C5C
	s_setvskip 0, 0                                            // 00000000DE20: BF108080
	s_setvskip s20, 6                                          // 00000000DE24: BF108614
	global_atomic_pk_add_bf16 v92, v77, s[8:9] offset:256      // 00000000DE28: DD488100 00084D5C
	s_setvskip 0, 0                                            // 00000000DE30: BF108080
	s_setvskip s20, 7                                          // 00000000DE34: BF108714
	global_atomic_pk_add_bf16 v94, v78, s[8:9]                 // 00000000DE38: DD488000 00084E5E
	s_setvskip 0, 0                                            // 00000000DE40: BF108080
	s_setvskip s20, 7                                          // 00000000DE44: BF108714
	global_atomic_pk_add_bf16 v94, v79, s[8:9] offset:256      // 00000000DE48: DD488100 00084F5E
	s_setvskip 0, 0                                            // 00000000DE50: BF108080

000000000000de54 <label_2CD5>:
	s_waitcnt vmcnt(0) expcnt(0) lgkmcnt(0)                    // 00000000DE54: BF8C0000
	s_endpgm                                                   // 00000000DE58: BF810000
